;; amdgpu-corpus repo=GPUOpen-LibrariesAndSDKs/Orochi kind=compiled arch=gfx950 opt=O3
	.amdgcn_target "amdgcn-amd-amdhsa--gfx950"
	.amdhsa_code_object_version 6
	.text
	.protected	SortSinglePassKernel    ; -- Begin function SortSinglePassKernel
	.globl	SortSinglePassKernel
	.p2align	8
	.type	SortSinglePassKernel,@function
SortSinglePassKernel:                   ; @SortSinglePassKernel
; %bb.0:
	s_cmp_lg_u32 s2, 0
	s_cbranch_scc0 .LBB0_2
.LBB0_1:
	s_endpgm
.LBB0_2:
	s_load_dwordx8 s[60:67], s[0:1], 0x0
	v_mul_u32_u24_e32 v1, 24, v0
	v_mov_b32_e32 v23, -1
	v_lshlrev_b32_e32 v13, 2, v1
	v_mov_b32_e32 v22, -1
	s_waitcnt lgkmcnt(0)
	v_cmp_gt_i32_e32 vcc, s64, v1
	s_and_saveexec_b64 s[0:1], vcc
	s_cbranch_execz .LBB0_4
; %bb.3:
	global_load_dword v22, v13, s[60:61]
.LBB0_4:
	s_or_b64 exec, exec, s[0:1]
	v_or_b32_e32 v2, 1, v1
	v_cmp_gt_i32_e64 s[0:1], s64, v2
	s_waitcnt vmcnt(0)
	ds_write_b32 v13, v22
	s_and_saveexec_b64 s[2:3], s[0:1]
	s_cbranch_execz .LBB0_6
; %bb.5:
	global_load_dword v23, v13, s[60:61] offset:4
.LBB0_6:
	s_or_b64 exec, exec, s[2:3]
	v_or_b32_e32 v2, 2, v1
	v_cmp_gt_i32_e64 s[2:3], s64, v2
	v_mov_b32_e32 v25, -1
	v_mov_b32_e32 v24, -1
	s_waitcnt vmcnt(0)
	ds_write_b32 v13, v23 offset:4
	s_and_saveexec_b64 s[4:5], s[2:3]
	s_cbranch_execz .LBB0_8
; %bb.7:
	global_load_dword v24, v13, s[60:61] offset:8
.LBB0_8:
	s_or_b64 exec, exec, s[4:5]
	v_or_b32_e32 v2, 3, v1
	v_cmp_gt_i32_e64 s[4:5], s64, v2
	s_waitcnt vmcnt(0)
	ds_write_b32 v13, v24 offset:8
	s_and_saveexec_b64 s[6:7], s[4:5]
	s_cbranch_execz .LBB0_10
; %bb.9:
	global_load_dword v25, v13, s[60:61] offset:12
.LBB0_10:
	s_or_b64 exec, exec, s[6:7]
	v_or_b32_e32 v2, 4, v1
	v_cmp_gt_i32_e64 s[6:7], s64, v2
	v_mov_b32_e32 v19, -1
	v_mov_b32_e32 v18, -1
	s_waitcnt vmcnt(0)
	ds_write_b32 v13, v25 offset:12
	s_and_saveexec_b64 s[8:9], s[6:7]
	s_cbranch_execz .LBB0_12
; %bb.11:
	global_load_dword v18, v13, s[60:61] offset:16
.LBB0_12:
	s_or_b64 exec, exec, s[8:9]
	v_or_b32_e32 v2, 5, v1
	v_cmp_gt_i32_e64 s[8:9], s64, v2
	s_waitcnt vmcnt(0)
	ds_write_b32 v13, v18 offset:16
	;; [unrolled: 22-line block ×3, first 2 shown]
	s_and_saveexec_b64 s[14:15], s[12:13]
	s_cbranch_execz .LBB0_18
; %bb.17:
	global_load_dword v21, v13, s[60:61] offset:28
.LBB0_18:
	s_or_b64 exec, exec, s[14:15]
	v_add_u32_e32 v2, 8, v1
	v_cmp_gt_i32_e64 s[14:15], s64, v2
	v_mov_b32_e32 v15, -1
	v_mov_b32_e32 v14, -1
	s_waitcnt vmcnt(0)
	ds_write_b32 v13, v21 offset:28
	s_and_saveexec_b64 s[16:17], s[14:15]
	s_cbranch_execz .LBB0_20
; %bb.19:
	global_load_dword v14, v13, s[60:61] offset:32
.LBB0_20:
	s_or_b64 exec, exec, s[16:17]
	v_add_u32_e32 v2, 9, v1
	v_cmp_gt_i32_e64 s[16:17], s64, v2
	s_waitcnt vmcnt(0)
	ds_write_b32 v13, v14 offset:32
	s_and_saveexec_b64 s[18:19], s[16:17]
	s_cbranch_execz .LBB0_22
; %bb.21:
	global_load_dword v15, v13, s[60:61] offset:36
.LBB0_22:
	s_or_b64 exec, exec, s[18:19]
	v_add_u32_e32 v2, 10, v1
	v_cmp_gt_i32_e64 s[18:19], s64, v2
	v_mov_b32_e32 v17, -1
	v_mov_b32_e32 v16, -1
	s_waitcnt vmcnt(0)
	ds_write_b32 v13, v15 offset:36
	s_and_saveexec_b64 s[20:21], s[18:19]
	s_cbranch_execz .LBB0_24
; %bb.23:
	global_load_dword v16, v13, s[60:61] offset:40
.LBB0_24:
	s_or_b64 exec, exec, s[20:21]
	v_add_u32_e32 v2, 11, v1
	v_cmp_gt_i32_e64 s[20:21], s64, v2
	s_waitcnt vmcnt(0)
	ds_write_b32 v13, v16 offset:40
	;; [unrolled: 22-line block ×7, first 2 shown]
	s_and_saveexec_b64 s[44:45], s[42:43]
	s_cbranch_execz .LBB0_46
; %bb.45:
	global_load_dword v11, v13, s[60:61] offset:84
.LBB0_46:
	s_or_b64 exec, exec, s[44:45]
	v_add_u32_e32 v12, 22, v1
	s_waitcnt vmcnt(0)
	ds_write_b32 v13, v11 offset:84
	v_cmp_gt_i32_e64 s[44:45], s64, v12
	v_mov_b32_e32 v26, v13
	v_mov_b32_e32 v13, -1
	v_mov_b32_e32 v12, -1
	s_and_saveexec_b64 s[46:47], s[44:45]
	s_cbranch_execz .LBB0_48
; %bb.47:
	global_load_dword v12, v26, s[60:61] offset:88
.LBB0_48:
	s_or_b64 exec, exec, s[46:47]
	v_add_u32_e32 v1, 23, v1
	v_cmp_gt_i32_e64 s[46:47], s64, v1
	s_waitcnt vmcnt(0)
	ds_write_b32 v26, v12 offset:88
	s_and_saveexec_b64 s[48:49], s[46:47]
	s_cbranch_execz .LBB0_50
; %bb.49:
	global_load_dword v13, v26, s[60:61] offset:92
.LBB0_50:
	s_or_b64 exec, exec, s[48:49]
	s_cmp_lt_i32 s65, s66
	scratch_store_dword off, v26, off offset:20 ; 4-byte Folded Spill
	s_waitcnt vmcnt(1)
	ds_write_b32 v26, v13 offset:92
	s_waitcnt lgkmcnt(0)
	s_barrier
	s_cbranch_scc0 .LBB0_149
; %bb.51:
	v_mov_b32_e32 v1, 0x3000
	v_lshl_add_u32 v33, v0, 5, v1
	v_lshlrev_b32_e32 v1, 1, v0
	v_or_b32_e32 v26, 1, v1
	v_add_u32_e32 v1, 2, v1
	s_mov_b32 s68, 0
	v_lshlrev_b32_e32 v36, 4, v1
	v_lshlrev_b32_e32 v38, 5, v1
	;; [unrolled: 1-line block ×7, first 2 shown]
	s_mov_b32 s69, s68
	v_lshlrev_b32_e32 v34, 3, v0
	v_cmp_gt_u32_e64 s[48:49], 64, v0
	v_cmp_gt_u32_e64 s[50:51], 32, v0
	;; [unrolled: 1-line block ×6, first 2 shown]
	v_cmp_eq_u32_e64 s[60:61], 0, v0
	v_lshlrev_b32_e32 v37, 4, v26
	v_lshlrev_b32_e32 v39, 5, v26
	;; [unrolled: 1-line block ×5, first 2 shown]
	v_mul_i32_i24_e32 v28, 0xffffffe4, v0
	v_lshlrev_b32_e32 v126, 2, v26
	v_lshlrev_b32_e32 v32, 3, v26
	scratch_store_dword off, v1, off        ; 4-byte Folded Spill
	v_mul_u32_u24_e32 v50, 0x60, v0
	v_mov_b32_e32 v26, 0
	s_mov_b32 s70, s68
	s_mov_b32 s71, s68
	v_mov_b64_e32 v[0:1], s[68:69]
	v_add_u32_e32 v35, 0x4020, v34
	scratch_store_dwordx2 off, v[0:1], off offset:4 ; 8-byte Folded Spill
	v_mov_b64_e32 v[0:1], s[70:71]
	v_mov_b32_e32 v27, v26
	v_add_u32_e32 v51, v33, v28
	v_mov_b32_e32 v52, 2
	scratch_store_dwordx2 off, v[0:1], off offset:12 ; 8-byte Folded Spill
	s_branch .LBB0_53
.LBB0_52:                               ;   in Loop: Header=BB0_53 Depth=1
	s_or_b64 exec, exec, s[68:69]
	s_waitcnt lgkmcnt(0)
	s_barrier
	s_barrier
	;; [unrolled: 1-line block ×3, first 2 shown]
	ds_read_u16 v24, v56
	v_lshl_or_b32 v25, v58, 3, v60
	ds_read_u16 v25, v25 offset:16384
	v_lshl_or_b32 v29, v55, 3, v61
	v_lshl_or_b32 v31, v64, 3, v66
	s_waitcnt lgkmcnt(1)
	v_add_u16_e32 v28, 1, v24
	ds_write_b16 v56, v28
	ds_read_u16 v28, v57
	ds_read_u16 v29, v29 offset:16384
	v_lshl_or_b32 v47, v59, 3, v67
	v_lshl_or_b32 v49, v70, 3, v71
	;; [unrolled: 1-line block ×3, first 2 shown]
	s_waitcnt lgkmcnt(1)
	v_add_u16_e32 v30, 1, v28
	ds_write_b16 v57, v30
	ds_read_u16 v30, v62
	ds_read_u16 v31, v31 offset:16384
	v_lshl_or_b32 v57, v74, 3, v75
	v_lshl_or_b32 v59, v73, 3, v76
	v_lshlrev_b32_sdwa v24, v52, v24 dst_sel:DWORD dst_unused:UNUSED_PAD src0_sel:DWORD src1_sel:WORD_0
	s_waitcnt lgkmcnt(1)
	v_add_u16_e32 v46, 1, v30
	ds_write_b16 v62, v46
	ds_read_u16 v46, v63
	ds_read_u16 v47, v47 offset:16384
	v_lshl_add_u32 v24, v25, 2, v24
	v_lshl_or_b32 v60, v98, 3, v99
	v_lshl_or_b32 v61, v97, 3, v100
	s_waitcnt lgkmcnt(1)
	v_add_u16_e32 v48, 1, v46
	ds_write_b16 v63, v48
	ds_read_u16 v48, v69
	ds_read_u16 v49, v49 offset:16384
	s_add_i32 s65, s65, 8
	s_cmp_ge_i32 s65, s66
	s_waitcnt lgkmcnt(1)
	v_add_u16_e32 v55, 1, v48
	ds_write_b16 v69, v55
	ds_read_u16 v55, v65
	ds_read_u16 v56, v56 offset:16384
	s_waitcnt lgkmcnt(1)
	v_add_u16_e32 v58, 1, v55
	ds_write_b16 v65, v58
	ds_read_u16 v57, v57 offset:16384
	ds_read_u16 v58, v53
	s_waitcnt lgkmcnt(0)
	v_add_u16_e32 v62, 1, v58
	ds_write_b16 v53, v62
	ds_read_u16 v53, v59 offset:16384
	ds_read_u16 v59, v54
	ds_write_b32 v24, v4
	v_lshlrev_b32_sdwa v4, v52, v28 dst_sel:DWORD dst_unused:UNUSED_PAD src0_sel:DWORD src1_sel:WORD_0
	v_lshl_add_u32 v4, v29, 2, v4
	s_waitcnt lgkmcnt(1)
	v_add_u16_e32 v24, 1, v59
	ds_write_b16 v54, v24
	ds_read_u16 v24, v60 offset:16384
	ds_read_u16 v25, v78
	ds_write_b32 v4, v5
	v_lshlrev_b32_sdwa v4, v52, v30 dst_sel:DWORD dst_unused:UNUSED_PAD src0_sel:DWORD src1_sel:WORD_0
	v_lshl_add_u32 v4, v31, 2, v4
	ds_write_b32 v4, v6
	s_waitcnt lgkmcnt(2)
	v_add_u16_e32 v4, 1, v25
	ds_write_b16 v78, v4
	ds_read_u16 v4, v61 offset:16384
	ds_read_u16 v5, v83
	v_lshlrev_b32_sdwa v6, v52, v46 dst_sel:DWORD dst_unused:UNUSED_PAD src0_sel:DWORD src1_sel:WORD_0
	v_lshl_add_u32 v6, v47, 2, v6
	ds_write_b32 v6, v7
	v_lshlrev_b32_sdwa v6, v52, v48 dst_sel:DWORD dst_unused:UNUSED_PAD src0_sel:DWORD src1_sel:WORD_0
	s_waitcnt lgkmcnt(1)
	v_add_u16_e32 v7, 1, v5
	ds_write_b16 v83, v7
	v_lshl_or_b32 v7, v88, 3, v90
	ds_read_u16 v7, v7 offset:16384
	ds_read_u16 v28, v79
	v_lshl_add_u32 v6, v49, 2, v6
	ds_write_b32 v6, v0
	v_lshlrev_b32_sdwa v0, v52, v55 dst_sel:DWORD dst_unused:UNUSED_PAD src0_sel:DWORD src1_sel:WORD_0
	v_lshl_add_u32 v0, v56, 2, v0
	s_waitcnt lgkmcnt(1)
	v_add_u16_e32 v6, 1, v28
	ds_write_b16 v79, v6
	v_lshl_or_b32 v6, v81, 3, v89
	ds_read_u16 v6, v6 offset:16384
	ds_read_u16 v29, v77
	ds_write_b32 v0, v1
	v_lshlrev_b32_sdwa v0, v52, v58 dst_sel:DWORD dst_unused:UNUSED_PAD src0_sel:DWORD src1_sel:WORD_0
	v_lshl_add_u32 v0, v57, 2, v0
	ds_write_b32 v0, v2
	s_waitcnt lgkmcnt(2)
	v_add_u16_e32 v0, 1, v29
	ds_write_b16 v77, v0
	v_lshl_or_b32 v0, v93, 3, v96
	ds_read_u16 v0, v0 offset:16384
	ds_read_u16 v1, v86
	v_lshlrev_b32_sdwa v2, v52, v59 dst_sel:DWORD dst_unused:UNUSED_PAD src0_sel:DWORD src1_sel:WORD_0
	v_lshl_add_u32 v2, v53, 2, v2
	ds_write_b32 v2, v3
	v_lshlrev_b32_sdwa v2, v52, v25 dst_sel:DWORD dst_unused:UNUSED_PAD src0_sel:DWORD src1_sel:WORD_0
	s_waitcnt lgkmcnt(1)
	v_add_u16_e32 v3, 1, v1
	ds_write_b16 v86, v3
	v_lshl_or_b32 v3, v87, 3, v94
	ds_read_u16 v3, v3 offset:16384
	ds_read_u16 v25, v82
	v_lshl_add_u32 v2, v24, 2, v2
	ds_write_b32 v2, v8
	v_lshlrev_b32_sdwa v2, v52, v5 dst_sel:DWORD dst_unused:UNUSED_PAD src0_sel:DWORD src1_sel:WORD_0
	v_lshl_add_u32 v2, v4, 2, v2
	s_waitcnt lgkmcnt(1)
	v_add_u16_e32 v4, 1, v25
	ds_write_b16 v82, v4
	v_lshl_or_b32 v4, v91, 3, v95
	ds_read_u16 v4, v4 offset:16384
	ds_read_u16 v5, v84
	ds_write_b32 v2, v9
	v_lshlrev_b32_sdwa v2, v52, v28 dst_sel:DWORD dst_unused:UNUSED_PAD src0_sel:DWORD src1_sel:WORD_0
	v_lshl_add_u32 v2, v7, 2, v2
	ds_write_b32 v2, v10
	s_waitcnt lgkmcnt(2)
	v_add_u16_e32 v2, 1, v5
	ds_write_b16 v84, v2
	v_lshl_or_b32 v2, v85, 3, v92
	;; [unrolled: 30-line block ×4, first 2 shown]
	ds_read_u16 v0, v0 offset:16384
	ds_read_u16 v1, v105
	v_lshlrev_b32_sdwa v4, v52, v7 dst_sel:DWORD dst_unused:UNUSED_PAD src0_sel:DWORD src1_sel:WORD_0
	v_lshl_add_u32 v4, v5, 2, v4
	ds_write_b32 v4, v19
	v_lshlrev_b32_sdwa v3, v52, v3 dst_sel:DWORD dst_unused:UNUSED_PAD src0_sel:DWORD src1_sel:WORD_0
	s_waitcnt lgkmcnt(1)
	v_add_u16_e32 v4, 1, v1
	ds_write_b16 v105, v4
	v_lshl_or_b32 v4, v116, 3, v122
	ds_read_u16 v4, v4 offset:16384
	ds_read_u16 v5, v107
	v_lshlrev_b32_sdwa v1, v52, v1 dst_sel:DWORD dst_unused:UNUSED_PAD src0_sel:DWORD src1_sel:WORD_0
	v_lshl_add_u32 v2, v2, 2, v3
	v_lshl_add_u32 v0, v0, 2, v1
	ds_write_b32 v2, v20
	s_waitcnt lgkmcnt(1)
	v_add_u16_e32 v1, 1, v5
	ds_write_b16 v107, v1
	v_lshl_or_b32 v1, v108, 3, v117
	ds_read_u16 v1, v1 offset:16384
	ds_read_u16 v2, v103
	ds_write_b32 v0, v21
	v_lshlrev_b32_sdwa v0, v52, v5 dst_sel:DWORD dst_unused:UNUSED_PAD src0_sel:DWORD src1_sel:WORD_0
	v_lshl_add_u32 v0, v4, 2, v0
	ds_write_b32 v0, v22
	s_waitcnt lgkmcnt(2)
	v_add_u16_e32 v0, 1, v2
	ds_write_b16 v103, v0
	v_lshlrev_b32_sdwa v0, v52, v2 dst_sel:DWORD dst_unused:UNUSED_PAD src0_sel:DWORD src1_sel:WORD_0
	v_lshl_add_u32 v0, v1, 2, v0
	ds_write_b32 v0, v23
	s_waitcnt lgkmcnt(0)
	s_barrier
	ds_read_b128 v[22:25], v50
	ds_read_b128 v[18:21], v50 offset:16
	ds_read_b128 v[14:17], v50 offset:32
	ds_read_b128 v[2:5], v50 offset:48
	ds_read_b128 v[6:9], v50 offset:64
	ds_read_b128 v[10:13], v50 offset:80
	s_cbranch_scc1 .LBB0_149
.LBB0_53:                               ; =>This Loop Header: Depth=1
                                        ;     Child Loop BB0_55 Depth 2
                                        ;     Child Loop BB0_103 Depth 2
	scratch_load_dwordx2 v[0:1], off, off offset:4 ; 8-byte Folded Reload
	scratch_load_dwordx2 v[28:29], off, off offset:12 ; 8-byte Folded Reload
	s_mov_b32 s33, 0
	s_waitcnt vmcnt(0)
	ds_write2_b64 v33, v[0:1], v[28:29] offset1:1
	ds_write2_b64 v33, v[0:1], v[28:29] offset0:2 offset1:3
	s_waitcnt lgkmcnt(7)
	v_ashrrev_i32_e32 v0, s65, v22
	v_bfe_u32 v115, v0, 2, 2
	v_and_b32_e32 v0, 3, v0
	v_lshlrev_b32_e32 v1, 3, v115
	v_lshlrev_b32_e32 v124, 1, v0
	v_add3_u32 v120, v33, v1, v124
	ds_read_u16 v0, v120
	s_waitcnt lgkmcnt(0)
	v_add_u16_e32 v0, 1, v0
	ds_write_b16 v120, v0
	v_ashrrev_i32_e32 v0, s65, v23
	v_bfe_u32 v111, v0, 2, 2
	v_and_b32_e32 v0, 3, v0
	v_lshlrev_b32_e32 v1, 3, v111
	v_lshlrev_b32_e32 v123, 1, v0
	v_add3_u32 v116, v33, v1, v123
	ds_read_u16 v0, v116
	s_waitcnt lgkmcnt(0)
	v_add_u16_e32 v0, 1, v0
	ds_write_b16 v116, v0
	;; [unrolled: 10-line block ×24, first 2 shown]
	s_waitcnt lgkmcnt(0)
	s_barrier
	s_branch .LBB0_55
.LBB0_54:                               ;   in Loop: Header=BB0_55 Depth=2
	s_or_b64 exec, exec, s[68:69]
	s_add_i32 s33, s33, 8
	s_cmp_eq_u32 s33, 32
	s_cbranch_scc1 .LBB0_85
.LBB0_55:                               ;   Parent Loop BB0_53 Depth=1
                                        ; =>  This Inner Loop Header: Depth=2
	v_add_u32_e32 v125, s33, v33
	ds_read_b64 v[0:1], v125
	s_waitcnt lgkmcnt(0)
	ds_write_b64 v35, v[0:1]
	s_waitcnt lgkmcnt(0)
	s_barrier
	s_and_saveexec_b64 s[68:69], s[48:49]
	s_cbranch_execz .LBB0_57
; %bb.56:                               ;   in Loop: Header=BB0_55 Depth=2
	v_add_u32_e32 v46, v35, v34
	ds_read_b128 v[28:31], v46
	s_waitcnt lgkmcnt(0)
	v_lshl_add_u64 v[0:1], v[30:31], 0, v[28:29]
	ds_write_b64 v46, v[0:1] offset:8
.LBB0_57:                               ;   in Loop: Header=BB0_55 Depth=2
	s_or_b64 exec, exec, s[68:69]
	s_waitcnt lgkmcnt(0)
	s_barrier
	s_and_saveexec_b64 s[68:69], s[50:51]
	s_cbranch_execz .LBB0_59
; %bb.58:                               ;   in Loop: Header=BB0_55 Depth=2
	ds_read_b64 v[0:1], v37 offset:16408
	ds_read_b64 v[28:29], v36 offset:16408
	s_waitcnt lgkmcnt(0)
	v_lshl_add_u64 v[0:1], v[28:29], 0, v[0:1]
	ds_write_b64 v36, v[0:1] offset:16408
.LBB0_59:                               ;   in Loop: Header=BB0_55 Depth=2
	s_or_b64 exec, exec, s[68:69]
	s_waitcnt lgkmcnt(0)
	s_barrier
	s_and_saveexec_b64 s[68:69], s[52:53]
	s_cbranch_execz .LBB0_61
; %bb.60:                               ;   in Loop: Header=BB0_55 Depth=2
	ds_read_b64 v[0:1], v39 offset:16408
	ds_read_b64 v[28:29], v38 offset:16408
	s_waitcnt lgkmcnt(0)
	v_lshl_add_u64 v[0:1], v[28:29], 0, v[0:1]
	ds_write_b64 v38, v[0:1] offset:16408
.LBB0_61:                               ;   in Loop: Header=BB0_55 Depth=2
	;; [unrolled: 12-line block ×5, first 2 shown]
	s_or_b64 exec, exec, s[68:69]
	s_waitcnt lgkmcnt(0)
	s_barrier
	s_and_saveexec_b64 s[68:69], s[60:61]
	s_cbranch_execz .LBB0_69
; %bb.68:                               ;   in Loop: Header=BB0_55 Depth=2
	v_add_u32_e64 v0, 24, 0
	ds_read2st64_b64 v[28:31], v0 offset0:33 offset1:34
	s_waitcnt lgkmcnt(0)
	v_lshl_add_u64 v[0:1], v[30:31], 0, v[28:29]
	ds_write_b64 v26, v[0:1] offset:17432
.LBB0_69:                               ;   in Loop: Header=BB0_55 Depth=2
	s_or_b64 exec, exec, s[68:69]
	s_waitcnt lgkmcnt(0)
	s_barrier
	s_barrier
	s_and_saveexec_b64 s[68:69], s[60:61]
	s_cbranch_execz .LBB0_71
; %bb.70:                               ;   in Loop: Header=BB0_55 Depth=2
	ds_read_b64 v[0:1], v26 offset:17432
	v_add_u32_e64 v46, 24, 0
	s_waitcnt lgkmcnt(0)
	ds_write_b64 v26, v[0:1] offset:17440
	s_waitcnt lgkmcnt(0)
	ds_write_b64 v26, v[26:27] offset:17432
	s_waitcnt lgkmcnt(0)
	ds_read2st64_b64 v[28:31], v46 offset0:33 offset1:34
	s_waitcnt lgkmcnt(0)
	v_lshl_add_u64 v[0:1], v[30:31], 0, v[28:29]
	ds_write2st64_b64 v46, v[30:31], v[0:1] offset0:33 offset1:34
.LBB0_71:                               ;   in Loop: Header=BB0_55 Depth=2
	s_or_b64 exec, exec, s[68:69]
	s_waitcnt lgkmcnt(0)
	s_barrier
	s_and_saveexec_b64 s[68:69], s[58:59]
	s_cbranch_execz .LBB0_73
; %bb.72:                               ;   in Loop: Header=BB0_55 Depth=2
	ds_read_b64 v[0:1], v44 offset:16408
	ds_read_b64 v[28:29], v45 offset:16408
	s_waitcnt lgkmcnt(1)
	ds_write_b64 v45, v[0:1] offset:16408
	s_waitcnt lgkmcnt(1)
	v_lshl_add_u64 v[0:1], v[0:1], 0, v[28:29]
	ds_write_b64 v44, v[0:1] offset:16408
.LBB0_73:                               ;   in Loop: Header=BB0_55 Depth=2
	s_or_b64 exec, exec, s[68:69]
	s_waitcnt lgkmcnt(0)
	s_barrier
	s_and_saveexec_b64 s[68:69], s[56:57]
	s_cbranch_execz .LBB0_75
; %bb.74:                               ;   in Loop: Header=BB0_55 Depth=2
	ds_read_b64 v[0:1], v42 offset:16408
	ds_read_b64 v[28:29], v43 offset:16408
	s_waitcnt lgkmcnt(1)
	ds_write_b64 v43, v[0:1] offset:16408
	s_waitcnt lgkmcnt(1)
	v_lshl_add_u64 v[0:1], v[0:1], 0, v[28:29]
	ds_write_b64 v42, v[0:1] offset:16408
.LBB0_75:                               ;   in Loop: Header=BB0_55 Depth=2
	;; [unrolled: 14-line block ×5, first 2 shown]
	s_or_b64 exec, exec, s[68:69]
	s_waitcnt lgkmcnt(0)
	s_barrier
	s_and_saveexec_b64 s[68:69], s[48:49]
	s_cbranch_execz .LBB0_83
; %bb.82:                               ;   in Loop: Header=BB0_55 Depth=2
	v_add_u32_e32 v0, v35, v34
	ds_read_b128 v[28:31], v0
	s_waitcnt lgkmcnt(0)
	v_lshl_add_u64 v[48:49], v[30:31], 0, v[28:29]
	v_mov_b32_e32 v46, v30
	v_mov_b32_e32 v47, v31
	ds_write_b128 v0, v[46:49]
.LBB0_83:                               ;   in Loop: Header=BB0_55 Depth=2
	s_or_b64 exec, exec, s[68:69]
	s_waitcnt lgkmcnt(0)
	s_barrier
	s_barrier
	ds_read_b64 v[0:1], v26 offset:17440
	s_waitcnt lgkmcnt(0)
	s_barrier
	ds_read_b64 v[28:29], v35
	s_waitcnt lgkmcnt(0)
	ds_write_b64 v125, v[28:29]
	s_and_saveexec_b64 s[68:69], s[60:61]
	s_cbranch_execz .LBB0_54
; %bb.84:                               ;   in Loop: Header=BB0_55 Depth=2
	v_mov_b32_e32 v28, s33
	ds_write_b64 v28, v[0:1] offset:16384
	s_branch .LBB0_54
.LBB0_85:                               ;   in Loop: Header=BB0_53 Depth=1
	s_waitcnt lgkmcnt(0)
	s_barrier
	s_and_saveexec_b64 s[68:69], s[54:55]
	s_cbranch_execz .LBB0_87
; %bb.86:                               ;   in Loop: Header=BB0_53 Depth=1
	ds_read_b32 v0, v51 offset:4096
	s_waitcnt lgkmcnt(0)
	v_add_u16_sdwa v0, v0, v0 dst_sel:DWORD dst_unused:UNUSED_PAD src0_sel:WORD_1 src1_sel:DWORD
	ds_write_b16 v51, v0 offset:4098
.LBB0_87:                               ;   in Loop: Header=BB0_53 Depth=1
	s_or_b64 exec, exec, s[68:69]
	s_waitcnt lgkmcnt(0)
	s_barrier
	s_and_saveexec_b64 s[68:69], s[56:57]
	s_cbranch_execz .LBB0_89
; %bb.88:                               ;   in Loop: Header=BB0_53 Depth=1
	ds_read_u16 v0, v126 offset:16382
	ds_read_u16 v1, v127 offset:16382
	s_waitcnt lgkmcnt(0)
	v_add_u16_e32 v0, v1, v0
	ds_write_b16 v127, v0 offset:16382
.LBB0_89:                               ;   in Loop: Header=BB0_53 Depth=1
	s_or_b64 exec, exec, s[68:69]
	s_waitcnt lgkmcnt(0)
	s_barrier
	s_and_saveexec_b64 s[68:69], s[58:59]
	s_cbranch_execz .LBB0_91
; %bb.90:                               ;   in Loop: Header=BB0_53 Depth=1
	scratch_load_dword v28, off, off        ; 4-byte Folded Reload
	ds_read_u16 v0, v32 offset:16382
	s_waitcnt vmcnt(0)
	ds_read_u16 v1, v28 offset:16382
	s_waitcnt lgkmcnt(0)
	v_add_u16_e32 v0, v1, v0
	ds_write_b16 v28, v0 offset:16382
.LBB0_91:                               ;   in Loop: Header=BB0_53 Depth=1
	s_or_b64 exec, exec, s[68:69]
	s_waitcnt lgkmcnt(0)
	s_barrier
	s_and_saveexec_b64 s[68:69], s[60:61]
	s_cbranch_execz .LBB0_93
; %bb.92:                               ;   in Loop: Header=BB0_53 Depth=1
	ds_read_u16 v0, v26 offset:16398
	ds_read_u16 v1, v26 offset:16414
	s_waitcnt lgkmcnt(0)
	v_add_u32_e32 v0, v1, v0
	ds_write_b16 v26, v0 offset:16414
.LBB0_93:                               ;   in Loop: Header=BB0_53 Depth=1
	s_or_b64 exec, exec, s[68:69]
	s_waitcnt lgkmcnt(0)
	s_barrier
	s_barrier
	s_and_saveexec_b64 s[68:69], s[60:61]
	s_cbranch_execz .LBB0_95
; %bb.94:                               ;   in Loop: Header=BB0_53 Depth=1
	ds_read_u16 v0, v26 offset:16414
	s_waitcnt lgkmcnt(0)
	ds_write_b16 v26, v0 offset:17448
	s_waitcnt lgkmcnt(0)
	ds_write_b16 v26, v26 offset:16414
	s_waitcnt lgkmcnt(0)
	ds_read_u16 v0, v26 offset:16414
	ds_read_u16 v1, v26 offset:16398
	s_waitcnt lgkmcnt(1)
	ds_write_b16 v26, v0 offset:16398
	s_waitcnt lgkmcnt(1)
	v_add_u32_e32 v0, v0, v1
	ds_write_b16 v26, v0 offset:16414
.LBB0_95:                               ;   in Loop: Header=BB0_53 Depth=1
	s_or_b64 exec, exec, s[68:69]
	s_waitcnt lgkmcnt(0)
	s_barrier
	s_and_saveexec_b64 s[68:69], s[58:59]
	s_cbranch_execz .LBB0_97
; %bb.96:                               ;   in Loop: Header=BB0_53 Depth=1
	scratch_load_dword v28, off, off        ; 4-byte Folded Reload
	s_waitcnt vmcnt(0)
	ds_read_u16 v0, v28 offset:16382
	ds_read_u16 v1, v32 offset:16382
	s_waitcnt lgkmcnt(1)
	ds_write_b16 v32, v0 offset:16382
	s_waitcnt lgkmcnt(1)
	v_add_u16_e32 v0, v0, v1
	ds_write_b16 v28, v0 offset:16382
.LBB0_97:                               ;   in Loop: Header=BB0_53 Depth=1
	s_or_b64 exec, exec, s[68:69]
	s_waitcnt lgkmcnt(0)
	s_barrier
	s_and_saveexec_b64 s[68:69], s[56:57]
	s_cbranch_execz .LBB0_99
; %bb.98:                               ;   in Loop: Header=BB0_53 Depth=1
	ds_read_u16 v0, v127 offset:16382
	ds_read_u16 v1, v126 offset:16382
	s_waitcnt lgkmcnt(1)
	ds_write_b16 v126, v0 offset:16382
	s_waitcnt lgkmcnt(1)
	v_add_u16_e32 v0, v0, v1
	ds_write_b16 v127, v0 offset:16382
.LBB0_99:                               ;   in Loop: Header=BB0_53 Depth=1
	s_or_b64 exec, exec, s[68:69]
	s_waitcnt lgkmcnt(0)
	s_barrier
	s_and_saveexec_b64 s[68:69], s[54:55]
	s_cbranch_execz .LBB0_101
; %bb.100:                              ;   in Loop: Header=BB0_53 Depth=1
	ds_read_b32 v0, v51 offset:4096
	s_waitcnt lgkmcnt(0)
	v_add_u16_sdwa v1, v0, v0 dst_sel:DWORD dst_unused:UNUSED_PAD src0_sel:WORD_1 src1_sel:DWORD
	v_alignbit_b32 v0, v1, v0, 16
	ds_write_b32 v51, v0 offset:4096
.LBB0_101:                              ;   in Loop: Header=BB0_53 Depth=1
	s_or_b64 exec, exec, s[68:69]
	s_waitcnt lgkmcnt(0)
	s_barrier
	s_barrier
	;; [unrolled: 1-line block ×3, first 2 shown]
	ds_read_u16 v0, v120
	v_lshl_or_b32 v1, v115, 3, v124
	ds_read_u16 v1, v1 offset:16384
	v_lshl_or_b32 v29, v111, 3, v123
	v_lshl_or_b32 v31, v107, 3, v121
	s_waitcnt lgkmcnt(1)
	v_add_u16_e32 v28, 1, v0
	ds_write_b16 v120, v28
	ds_read_u16 v28, v116
	ds_read_u16 v29, v29 offset:16384
	v_lshl_or_b32 v47, v103, 3, v117
	v_lshl_or_b32 v49, v101, 3, v113
	;; [unrolled: 1-line block ×3, first 2 shown]
	s_waitcnt lgkmcnt(1)
	v_add_u16_e32 v30, 1, v28
	ds_write_b16 v116, v30
	ds_read_u16 v30, v112
	ds_read_u16 v31, v31 offset:16384
	v_lshl_or_b32 v103, v105, 3, v118
	v_lshl_or_b32 v102, v102, 3, v114
	v_lshlrev_b32_sdwa v0, v52, v0 dst_sel:DWORD dst_unused:UNUSED_PAD src0_sel:DWORD src1_sel:WORD_0
	s_waitcnt lgkmcnt(1)
	v_add_u16_e32 v46, 1, v30
	ds_write_b16 v112, v46
	ds_read_u16 v46, v108
	ds_read_u16 v47, v47 offset:16384
	v_lshl_add_u32 v0, v1, 2, v0
	v_lshl_or_b32 v105, v109, 3, v122
	s_add_i32 s33, s65, 4
	s_waitcnt lgkmcnt(1)
	v_add_u16_e32 v48, 1, v46
	ds_write_b16 v108, v48
	ds_read_u16 v48, v104
	ds_read_u16 v49, v49 offset:16384
	s_mov_b32 s68, 0
	s_mov_b32 s69, s68
	;; [unrolled: 1-line block ×3, first 2 shown]
	s_waitcnt lgkmcnt(1)
	v_add_u16_e32 v101, 1, v48
	ds_write_b16 v104, v101
	ds_read_u16 v101, v99
	ds_read_u16 v100, v100 offset:16384
	s_mov_b32 s71, s68
	s_waitcnt lgkmcnt(1)
	v_add_u16_e32 v104, 1, v101
	ds_write_b16 v99, v104
	ds_read_u16 v99, v103 offset:16384
	ds_read_u16 v103, v87
	v_lshl_or_b32 v104, v106, 3, v119
	s_waitcnt lgkmcnt(0)
	v_add_u16_e32 v106, 1, v103
	ds_write_b16 v87, v106
	ds_read_u16 v87, v102 offset:16384
	ds_read_u16 v102, v89
	ds_write_b32 v0, v22
	v_lshlrev_b32_sdwa v0, v52, v28 dst_sel:DWORD dst_unused:UNUSED_PAD src0_sel:DWORD src1_sel:WORD_0
	v_lshl_add_u32 v0, v29, 2, v0
	s_waitcnt lgkmcnt(1)
	v_add_u16_e32 v1, 1, v102
	ds_write_b16 v89, v1
	ds_read_u16 v1, v104 offset:16384
	ds_read_u16 v22, v92
	ds_write_b32 v0, v23
	v_lshlrev_b32_sdwa v0, v52, v30 dst_sel:DWORD dst_unused:UNUSED_PAD src0_sel:DWORD src1_sel:WORD_0
	v_lshl_add_u32 v0, v31, 2, v0
	ds_write_b32 v0, v24
	s_waitcnt lgkmcnt(2)
	v_add_u16_e32 v0, 1, v22
	ds_write_b16 v92, v0
	ds_read_u16 v0, v105 offset:16384
	ds_read_u16 v23, v94
	v_lshlrev_b32_sdwa v24, v52, v46 dst_sel:DWORD dst_unused:UNUSED_PAD src0_sel:DWORD src1_sel:WORD_0
	v_lshl_add_u32 v24, v47, 2, v24
	ds_write_b32 v24, v25
	v_lshlrev_b32_sdwa v24, v52, v48 dst_sel:DWORD dst_unused:UNUSED_PAD src0_sel:DWORD src1_sel:WORD_0
	s_waitcnt lgkmcnt(1)
	v_add_u16_e32 v25, 1, v23
	ds_write_b16 v94, v25
	v_lshl_or_b32 v25, v96, 3, v98
	ds_read_u16 v25, v25 offset:16384
	ds_read_u16 v28, v90
	v_lshl_add_u32 v24, v49, 2, v24
	ds_write_b32 v24, v18
	v_lshlrev_b32_sdwa v18, v52, v101 dst_sel:DWORD dst_unused:UNUSED_PAD src0_sel:DWORD src1_sel:WORD_0
	v_lshl_add_u32 v18, v100, 2, v18
	s_waitcnt lgkmcnt(1)
	v_add_u16_e32 v24, 1, v28
	ds_write_b16 v90, v24
	v_lshl_or_b32 v24, v93, 3, v97
	ds_read_u16 v24, v24 offset:16384
	ds_read_u16 v29, v85
	ds_write_b32 v18, v19
	v_lshlrev_b32_sdwa v18, v52, v103 dst_sel:DWORD dst_unused:UNUSED_PAD src0_sel:DWORD src1_sel:WORD_0
	v_lshl_add_u32 v18, v99, 2, v18
	ds_write_b32 v18, v20
	s_waitcnt lgkmcnt(2)
	v_add_u16_e32 v18, 1, v29
	ds_write_b16 v85, v18
	v_lshl_or_b32 v18, v88, 3, v95
	ds_read_u16 v18, v18 offset:16384
	ds_read_u16 v19, v82
	v_lshlrev_b32_sdwa v20, v52, v102 dst_sel:DWORD dst_unused:UNUSED_PAD src0_sel:DWORD src1_sel:WORD_0
	v_lshl_add_u32 v20, v87, 2, v20
	ds_write_b32 v20, v21
	v_lshlrev_b32_sdwa v20, v52, v22 dst_sel:DWORD dst_unused:UNUSED_PAD src0_sel:DWORD src1_sel:WORD_0
	s_waitcnt lgkmcnt(1)
	v_add_u16_e32 v21, 1, v19
	ds_write_b16 v82, v21
	v_lshl_or_b32 v21, v84, 3, v91
	ds_read_u16 v21, v21 offset:16384
	ds_read_u16 v22, v79
	v_lshl_add_u32 v1, v1, 2, v20
	ds_write_b32 v1, v14
	v_lshlrev_b32_sdwa v1, v52, v23 dst_sel:DWORD dst_unused:UNUSED_PAD src0_sel:DWORD src1_sel:WORD_0
	v_lshl_add_u32 v0, v0, 2, v1
	s_waitcnt lgkmcnt(1)
	v_add_u16_e32 v1, 1, v22
	ds_write_b16 v79, v1
	v_lshl_or_b32 v1, v81, 3, v86
	ds_read_u16 v1, v1 offset:16384
	ds_read_u16 v14, v76
	ds_write_b32 v0, v15
	v_lshlrev_b32_sdwa v0, v52, v28 dst_sel:DWORD dst_unused:UNUSED_PAD src0_sel:DWORD src1_sel:WORD_0
	v_lshl_add_u32 v0, v25, 2, v0
	ds_write_b32 v0, v16
	s_waitcnt lgkmcnt(2)
	v_add_u16_e32 v0, 1, v14
	ds_write_b16 v76, v0
	v_lshl_or_b32 v0, v78, 3, v83
	;; [unrolled: 30-line block ×4, first 2 shown]
	ds_read_u16 v0, v0 offset:16384
	ds_read_u16 v1, v56
	v_lshlrev_b32_sdwa v2, v52, v4 dst_sel:DWORD dst_unused:UNUSED_PAD src0_sel:DWORD src1_sel:WORD_0
	v_lshl_add_u32 v2, v3, 2, v2
	ds_write_b32 v2, v9
	v_lshlrev_b32_sdwa v2, v52, v6 dst_sel:DWORD dst_unused:UNUSED_PAD src0_sel:DWORD src1_sel:WORD_0
	s_waitcnt lgkmcnt(1)
	v_add_u16_e32 v3, 1, v1
	ds_write_b16 v56, v3
	v_lshl_or_b32 v3, v57, 3, v62
	ds_read_u16 v3, v3 offset:16384
	ds_read_u16 v4, v54
	v_lshlrev_b32_sdwa v1, v52, v1 dst_sel:DWORD dst_unused:UNUSED_PAD src0_sel:DWORD src1_sel:WORD_0
	v_lshl_add_u32 v2, v5, 2, v2
	v_lshl_add_u32 v0, v0, 2, v1
	ds_write_b32 v2, v10
	s_waitcnt lgkmcnt(1)
	v_add_u16_e32 v1, 1, v4
	ds_write_b16 v54, v1
	v_lshl_or_b32 v1, v55, 3, v59
	ds_read_u16 v1, v1 offset:16384
	ds_read_u16 v2, v53
	ds_write_b32 v0, v11
	v_lshlrev_b32_sdwa v0, v52, v4 dst_sel:DWORD dst_unused:UNUSED_PAD src0_sel:DWORD src1_sel:WORD_0
	v_lshl_add_u32 v0, v3, 2, v0
	ds_write_b32 v0, v12
	s_waitcnt lgkmcnt(2)
	v_add_u16_e32 v0, 1, v2
	ds_write_b16 v53, v0
	v_lshlrev_b32_sdwa v0, v52, v2 dst_sel:DWORD dst_unused:UNUSED_PAD src0_sel:DWORD src1_sel:WORD_0
	v_lshl_add_u32 v0, v1, 2, v0
	ds_write_b32 v0, v13
	s_waitcnt lgkmcnt(0)
	s_barrier
	ds_read_b128 v[4:7], v50
	v_mov_b64_e32 v[0:1], s[68:69]
	v_mov_b64_e32 v[2:3], s[70:71]
	ds_write2_b64 v33, v[0:1], v[2:3] offset1:1
	ds_write2_b64 v33, v[0:1], v[2:3] offset0:2 offset1:3
	ds_read_b128 v[0:3], v50 offset:16
	s_waitcnt lgkmcnt(3)
	v_ashrrev_i32_e32 v8, s33, v4
	v_and_b32_e32 v9, 3, v8
	v_lshrrev_b32_e32 v8, 2, v8
	v_and_b32_e32 v58, 3, v8
	v_lshlrev_b32_e32 v8, 3, v58
	v_lshlrev_b32_e32 v60, 1, v9
	v_add3_u32 v56, v33, v8, v60
	ds_read_u16 v8, v56
	v_ashrrev_i32_e32 v9, s33, v5
	v_lshrrev_b32_e32 v10, 2, v9
	v_and_b32_e32 v55, 3, v10
	s_waitcnt lgkmcnt(0)
	v_add_u16_e32 v8, 1, v8
	ds_write_b16 v56, v8
	v_and_b32_e32 v8, 3, v9
	v_lshlrev_b32_e32 v9, 3, v55
	v_lshlrev_b32_e32 v61, 1, v8
	v_add3_u32 v57, v33, v9, v61
	ds_read_u16 v8, v57
	s_waitcnt lgkmcnt(0)
	v_add_u16_e32 v8, 1, v8
	ds_write_b16 v57, v8
	v_ashrrev_i32_e32 v8, s33, v6
	v_and_b32_e32 v9, 3, v8
	v_lshrrev_b32_e32 v8, 2, v8
	v_and_b32_e32 v64, 3, v8
	v_lshlrev_b32_e32 v8, 3, v64
	v_lshlrev_b32_e32 v66, 1, v9
	v_add3_u32 v62, v33, v8, v66
	ds_read_u16 v8, v62
	v_ashrrev_i32_e32 v9, s33, v7
	v_lshrrev_b32_e32 v10, 2, v9
	v_and_b32_e32 v59, 3, v10
	s_waitcnt lgkmcnt(0)
	v_add_u16_e32 v8, 1, v8
	ds_write_b16 v62, v8
	v_and_b32_e32 v8, 3, v9
	v_lshlrev_b32_e32 v9, 3, v59
	v_lshlrev_b32_e32 v67, 1, v8
	v_add3_u32 v63, v33, v9, v67
	ds_read_u16 v8, v63
	s_waitcnt lgkmcnt(0)
	v_add_u16_e32 v8, 1, v8
	ds_write_b16 v63, v8
	;; [unrolled: 22-line block ×3, first 2 shown]
	v_ashrrev_i32_e32 v8, s33, v2
	v_and_b32_e32 v9, 3, v8
	v_lshrrev_b32_e32 v8, 2, v8
	v_and_b32_e32 v74, 3, v8
	v_lshlrev_b32_e32 v8, 3, v74
	v_lshlrev_b32_e32 v75, 1, v9
	v_add3_u32 v53, v33, v8, v75
	ds_read_u16 v8, v53
	v_ashrrev_i32_e32 v9, s33, v3
	v_lshrrev_b32_e32 v10, 2, v9
	v_and_b32_e32 v73, 3, v10
	s_waitcnt lgkmcnt(0)
	v_add_u16_e32 v8, 1, v8
	ds_write_b16 v53, v8
	v_and_b32_e32 v8, 3, v9
	v_lshlrev_b32_e32 v9, 3, v73
	v_lshlrev_b32_e32 v76, 1, v8
	v_add3_u32 v54, v33, v9, v76
	ds_read_u16 v12, v54
	ds_read_b128 v[8:11], v50 offset:32
	s_waitcnt lgkmcnt(1)
	v_add_u16_e32 v12, 1, v12
	s_waitcnt lgkmcnt(0)
	v_ashrrev_i32_e32 v16, s33, v8
	v_and_b32_e32 v17, 3, v16
	v_lshrrev_b32_e32 v16, 2, v16
	v_and_b32_e32 v98, 3, v16
	v_lshlrev_b32_e32 v16, 3, v98
	v_lshlrev_b32_e32 v99, 1, v17
	ds_write_b16 v54, v12
	v_add3_u32 v78, v33, v16, v99
	ds_read_u16 v16, v78
	v_ashrrev_i32_e32 v17, s33, v9
	v_lshrrev_b32_e32 v18, 2, v17
	v_and_b32_e32 v97, 3, v18
	ds_read_b128 v[12:15], v50 offset:48
	s_waitcnt lgkmcnt(1)
	v_add_u16_e32 v16, 1, v16
	ds_write_b16 v78, v16
	v_and_b32_e32 v16, 3, v17
	v_lshlrev_b32_e32 v17, 3, v97
	v_lshlrev_b32_e32 v100, 1, v16
	v_add3_u32 v83, v33, v17, v100
	ds_read_u16 v16, v83
	s_waitcnt lgkmcnt(0)
	v_add_u16_e32 v16, 1, v16
	ds_write_b16 v83, v16
	v_ashrrev_i32_e32 v16, s33, v10
	v_and_b32_e32 v17, 3, v16
	v_lshrrev_b32_e32 v16, 2, v16
	v_and_b32_e32 v88, 3, v16
	v_lshlrev_b32_e32 v16, 3, v88
	v_lshlrev_b32_e32 v90, 1, v17
	v_add3_u32 v79, v33, v16, v90
	ds_read_u16 v16, v79
	v_ashrrev_i32_e32 v17, s33, v11
	v_lshrrev_b32_e32 v18, 2, v17
	v_and_b32_e32 v81, 3, v18
	s_waitcnt lgkmcnt(0)
	v_add_u16_e32 v16, 1, v16
	ds_write_b16 v79, v16
	v_and_b32_e32 v16, 3, v17
	v_lshlrev_b32_e32 v17, 3, v81
	v_lshlrev_b32_e32 v89, 1, v16
	v_add3_u32 v77, v33, v17, v89
	ds_read_u16 v16, v77
	s_waitcnt lgkmcnt(0)
	v_add_u16_e32 v16, 1, v16
	ds_write_b16 v77, v16
	v_ashrrev_i32_e32 v16, s33, v12
	v_and_b32_e32 v17, 3, v16
	v_lshrrev_b32_e32 v16, 2, v16
	v_and_b32_e32 v93, 3, v16
	v_lshlrev_b32_e32 v16, 3, v93
	v_lshlrev_b32_e32 v96, 1, v17
	v_add3_u32 v86, v33, v16, v96
	ds_read_u16 v16, v86
	v_ashrrev_i32_e32 v17, s33, v13
	v_lshrrev_b32_e32 v18, 2, v17
	v_and_b32_e32 v87, 3, v18
	;; [unrolled: 22-line block ×3, first 2 shown]
	s_waitcnt lgkmcnt(0)
	v_add_u16_e32 v16, 1, v16
	ds_write_b16 v84, v16
	v_and_b32_e32 v16, 3, v17
	v_lshlrev_b32_e32 v17, 3, v85
	v_lshlrev_b32_e32 v92, 1, v16
	v_add3_u32 v80, v33, v17, v92
	ds_read_u16 v20, v80
	ds_read_b128 v[16:19], v50 offset:64
	s_waitcnt lgkmcnt(1)
	v_add_u16_e32 v20, 1, v20
	s_waitcnt lgkmcnt(0)
	v_ashrrev_i32_e32 v24, s33, v16
	v_and_b32_e32 v25, 3, v24
	v_lshrrev_b32_e32 v24, 2, v24
	v_and_b32_e32 v120, 3, v24
	v_lshlrev_b32_e32 v24, 3, v120
	v_lshlrev_b32_e32 v124, 1, v25
	ds_write_b16 v80, v20
	v_add3_u32 v111, v33, v24, v124
	ds_read_u16 v24, v111
	v_ashrrev_i32_e32 v25, s33, v17
	v_lshrrev_b32_e32 v28, 2, v25
	v_and_b32_e32 v112, 3, v28
	ds_read_b128 v[20:23], v50 offset:80
	s_waitcnt lgkmcnt(1)
	v_add_u16_e32 v24, 1, v24
	ds_write_b16 v111, v24
	v_and_b32_e32 v24, 3, v25
	v_lshlrev_b32_e32 v25, 3, v112
	v_lshlrev_b32_e32 v121, 1, v24
	v_add3_u32 v106, v33, v25, v121
	ds_read_u16 v24, v106
	s_waitcnt lgkmcnt(0)
	v_add_u16_e32 v24, 1, v24
	ds_write_b16 v106, v24
	v_ashrrev_i32_e32 v24, s33, v18
	v_and_b32_e32 v25, 3, v24
	v_lshrrev_b32_e32 v24, 2, v24
	v_and_b32_e32 v113, 3, v24
	v_lshlrev_b32_e32 v24, 3, v113
	v_lshlrev_b32_e32 v115, 1, v25
	v_add3_u32 v102, v33, v24, v115
	ds_read_u16 v24, v102
	v_ashrrev_i32_e32 v25, s33, v19
	v_lshrrev_b32_e32 v28, 2, v25
	v_and_b32_e32 v104, 3, v28
	s_waitcnt lgkmcnt(0)
	v_add_u16_e32 v24, 1, v24
	ds_write_b16 v102, v24
	v_and_b32_e32 v24, 3, v25
	v_lshlrev_b32_e32 v25, 3, v104
	v_lshlrev_b32_e32 v114, 1, v24
	v_add3_u32 v101, v33, v25, v114
	ds_read_u16 v24, v101
	s_waitcnt lgkmcnt(0)
	v_add_u16_e32 v24, 1, v24
	ds_write_b16 v101, v24
	v_ashrrev_i32_e32 v24, s33, v20
	v_and_b32_e32 v25, 3, v24
	v_lshrrev_b32_e32 v24, 2, v24
	v_and_b32_e32 v118, 3, v24
	v_lshlrev_b32_e32 v24, 3, v118
	v_lshlrev_b32_e32 v123, 1, v25
	v_add3_u32 v109, v33, v24, v123
	ds_read_u16 v24, v109
	v_ashrrev_i32_e32 v25, s33, v21
	v_lshrrev_b32_e32 v28, 2, v25
	v_and_b32_e32 v110, 3, v28
	;; [unrolled: 22-line block ×3, first 2 shown]
	s_waitcnt lgkmcnt(0)
	v_add_u16_e32 v24, 1, v24
	ds_write_b16 v107, v24
	v_and_b32_e32 v24, 3, v25
	v_lshlrev_b32_e32 v25, 3, v108
	v_lshlrev_b32_e32 v117, 1, v24
	v_add3_u32 v103, v33, v25, v117
	ds_read_u16 v24, v103
	s_waitcnt lgkmcnt(0)
	v_add_u16_e32 v24, 1, v24
	ds_write_b16 v103, v24
	s_waitcnt lgkmcnt(0)
	s_barrier
	s_branch .LBB0_103
.LBB0_102:                              ;   in Loop: Header=BB0_103 Depth=2
	s_or_b64 exec, exec, s[70:71]
	s_add_i32 s68, s68, 8
	s_cmp_eq_u32 s68, 32
	s_cbranch_scc1 .LBB0_133
.LBB0_103:                              ;   Parent Loop BB0_53 Depth=1
                                        ; =>  This Inner Loop Header: Depth=2
	v_add_u32_e32 v125, s68, v33
	ds_read_b64 v[24:25], v125
	s_waitcnt lgkmcnt(0)
	ds_write_b64 v35, v[24:25]
	s_waitcnt lgkmcnt(0)
	s_barrier
	s_and_saveexec_b64 s[70:71], s[48:49]
	s_cbranch_execz .LBB0_105
; %bb.104:                              ;   in Loop: Header=BB0_103 Depth=2
	v_add_u32_e32 v46, v35, v34
	ds_read_b128 v[28:31], v46
	s_waitcnt lgkmcnt(0)
	v_lshl_add_u64 v[24:25], v[30:31], 0, v[28:29]
	ds_write_b64 v46, v[24:25] offset:8
.LBB0_105:                              ;   in Loop: Header=BB0_103 Depth=2
	s_or_b64 exec, exec, s[70:71]
	s_waitcnt lgkmcnt(0)
	s_barrier
	s_and_saveexec_b64 s[70:71], s[50:51]
	s_cbranch_execz .LBB0_107
; %bb.106:                              ;   in Loop: Header=BB0_103 Depth=2
	ds_read_b64 v[24:25], v37 offset:16408
	ds_read_b64 v[28:29], v36 offset:16408
	s_waitcnt lgkmcnt(0)
	v_lshl_add_u64 v[24:25], v[28:29], 0, v[24:25]
	ds_write_b64 v36, v[24:25] offset:16408
.LBB0_107:                              ;   in Loop: Header=BB0_103 Depth=2
	s_or_b64 exec, exec, s[70:71]
	s_waitcnt lgkmcnt(0)
	s_barrier
	s_and_saveexec_b64 s[70:71], s[52:53]
	s_cbranch_execz .LBB0_109
; %bb.108:                              ;   in Loop: Header=BB0_103 Depth=2
	ds_read_b64 v[24:25], v39 offset:16408
	ds_read_b64 v[28:29], v38 offset:16408
	s_waitcnt lgkmcnt(0)
	v_lshl_add_u64 v[24:25], v[28:29], 0, v[24:25]
	ds_write_b64 v38, v[24:25] offset:16408
.LBB0_109:                              ;   in Loop: Header=BB0_103 Depth=2
	;; [unrolled: 12-line block ×5, first 2 shown]
	s_or_b64 exec, exec, s[70:71]
	s_waitcnt lgkmcnt(0)
	s_barrier
	s_and_saveexec_b64 s[70:71], s[60:61]
	s_cbranch_execz .LBB0_117
; %bb.116:                              ;   in Loop: Header=BB0_103 Depth=2
	v_add_u32_e64 v24, 24, 0
	ds_read2st64_b64 v[28:31], v24 offset0:33 offset1:34
	s_waitcnt lgkmcnt(0)
	v_lshl_add_u64 v[24:25], v[30:31], 0, v[28:29]
	ds_write_b64 v26, v[24:25] offset:17432
.LBB0_117:                              ;   in Loop: Header=BB0_103 Depth=2
	s_or_b64 exec, exec, s[70:71]
	s_waitcnt lgkmcnt(0)
	s_barrier
	s_barrier
	s_and_saveexec_b64 s[70:71], s[60:61]
	s_cbranch_execz .LBB0_119
; %bb.118:                              ;   in Loop: Header=BB0_103 Depth=2
	ds_read_b64 v[24:25], v26 offset:17432
	v_add_u32_e64 v46, 24, 0
	s_waitcnt lgkmcnt(0)
	ds_write_b64 v26, v[24:25] offset:17440
	s_waitcnt lgkmcnt(0)
	ds_write_b64 v26, v[26:27] offset:17432
	s_waitcnt lgkmcnt(0)
	ds_read2st64_b64 v[28:31], v46 offset0:33 offset1:34
	s_waitcnt lgkmcnt(0)
	v_lshl_add_u64 v[24:25], v[30:31], 0, v[28:29]
	ds_write2st64_b64 v46, v[30:31], v[24:25] offset0:33 offset1:34
.LBB0_119:                              ;   in Loop: Header=BB0_103 Depth=2
	s_or_b64 exec, exec, s[70:71]
	s_waitcnt lgkmcnt(0)
	s_barrier
	s_and_saveexec_b64 s[70:71], s[58:59]
	s_cbranch_execz .LBB0_121
; %bb.120:                              ;   in Loop: Header=BB0_103 Depth=2
	ds_read_b64 v[24:25], v44 offset:16408
	ds_read_b64 v[28:29], v45 offset:16408
	s_waitcnt lgkmcnt(1)
	ds_write_b64 v45, v[24:25] offset:16408
	s_waitcnt lgkmcnt(1)
	v_lshl_add_u64 v[24:25], v[24:25], 0, v[28:29]
	ds_write_b64 v44, v[24:25] offset:16408
.LBB0_121:                              ;   in Loop: Header=BB0_103 Depth=2
	s_or_b64 exec, exec, s[70:71]
	s_waitcnt lgkmcnt(0)
	s_barrier
	s_and_saveexec_b64 s[70:71], s[56:57]
	s_cbranch_execz .LBB0_123
; %bb.122:                              ;   in Loop: Header=BB0_103 Depth=2
	ds_read_b64 v[24:25], v42 offset:16408
	ds_read_b64 v[28:29], v43 offset:16408
	s_waitcnt lgkmcnt(1)
	ds_write_b64 v43, v[24:25] offset:16408
	s_waitcnt lgkmcnt(1)
	v_lshl_add_u64 v[24:25], v[24:25], 0, v[28:29]
	ds_write_b64 v42, v[24:25] offset:16408
.LBB0_123:                              ;   in Loop: Header=BB0_103 Depth=2
	;; [unrolled: 14-line block ×5, first 2 shown]
	s_or_b64 exec, exec, s[70:71]
	s_waitcnt lgkmcnt(0)
	s_barrier
	s_and_saveexec_b64 s[70:71], s[48:49]
	s_cbranch_execz .LBB0_131
; %bb.130:                              ;   in Loop: Header=BB0_103 Depth=2
	v_add_u32_e32 v24, v35, v34
	ds_read_b128 v[28:31], v24
	s_waitcnt lgkmcnt(0)
	v_lshl_add_u64 v[48:49], v[30:31], 0, v[28:29]
	v_mov_b32_e32 v46, v30
	v_mov_b32_e32 v47, v31
	ds_write_b128 v24, v[46:49]
.LBB0_131:                              ;   in Loop: Header=BB0_103 Depth=2
	s_or_b64 exec, exec, s[70:71]
	s_waitcnt lgkmcnt(0)
	s_barrier
	s_barrier
	ds_read_b64 v[24:25], v26 offset:17440
	s_waitcnt lgkmcnt(0)
	s_barrier
	ds_read_b64 v[28:29], v35
	s_waitcnt lgkmcnt(0)
	ds_write_b64 v125, v[28:29]
	s_and_saveexec_b64 s[70:71], s[60:61]
	s_cbranch_execz .LBB0_102
; %bb.132:                              ;   in Loop: Header=BB0_103 Depth=2
	v_mov_b32_e32 v28, s68
	ds_write_b64 v28, v[24:25] offset:16384
	s_branch .LBB0_102
.LBB0_133:                              ;   in Loop: Header=BB0_53 Depth=1
	s_waitcnt lgkmcnt(0)
	s_barrier
	s_and_saveexec_b64 s[68:69], s[54:55]
	s_cbranch_execz .LBB0_135
; %bb.134:                              ;   in Loop: Header=BB0_53 Depth=1
	ds_read_b32 v24, v51 offset:4096
	s_waitcnt lgkmcnt(0)
	v_add_u16_sdwa v24, v24, v24 dst_sel:DWORD dst_unused:UNUSED_PAD src0_sel:WORD_1 src1_sel:DWORD
	ds_write_b16 v51, v24 offset:4098
.LBB0_135:                              ;   in Loop: Header=BB0_53 Depth=1
	s_or_b64 exec, exec, s[68:69]
	s_waitcnt lgkmcnt(0)
	s_barrier
	s_and_saveexec_b64 s[68:69], s[56:57]
	s_cbranch_execz .LBB0_137
; %bb.136:                              ;   in Loop: Header=BB0_53 Depth=1
	ds_read_u16 v24, v126 offset:16382
	ds_read_u16 v25, v127 offset:16382
	s_waitcnt lgkmcnt(0)
	v_add_u16_e32 v24, v25, v24
	ds_write_b16 v127, v24 offset:16382
.LBB0_137:                              ;   in Loop: Header=BB0_53 Depth=1
	s_or_b64 exec, exec, s[68:69]
	s_waitcnt lgkmcnt(0)
	s_barrier
	s_and_saveexec_b64 s[68:69], s[58:59]
	s_cbranch_execz .LBB0_139
; %bb.138:                              ;   in Loop: Header=BB0_53 Depth=1
	scratch_load_dword v28, off, off        ; 4-byte Folded Reload
	ds_read_u16 v24, v32 offset:16382
	s_waitcnt vmcnt(0)
	ds_read_u16 v25, v28 offset:16382
	s_waitcnt lgkmcnt(0)
	v_add_u16_e32 v24, v25, v24
	ds_write_b16 v28, v24 offset:16382
.LBB0_139:                              ;   in Loop: Header=BB0_53 Depth=1
	s_or_b64 exec, exec, s[68:69]
	s_waitcnt lgkmcnt(0)
	s_barrier
	s_and_saveexec_b64 s[68:69], s[60:61]
	s_cbranch_execz .LBB0_141
; %bb.140:                              ;   in Loop: Header=BB0_53 Depth=1
	ds_read_u16 v24, v26 offset:16398
	ds_read_u16 v25, v26 offset:16414
	s_waitcnt lgkmcnt(0)
	v_add_u32_e32 v24, v25, v24
	ds_write_b16 v26, v24 offset:16414
.LBB0_141:                              ;   in Loop: Header=BB0_53 Depth=1
	s_or_b64 exec, exec, s[68:69]
	s_waitcnt lgkmcnt(0)
	s_barrier
	s_barrier
	s_and_saveexec_b64 s[68:69], s[60:61]
	s_cbranch_execz .LBB0_143
; %bb.142:                              ;   in Loop: Header=BB0_53 Depth=1
	ds_read_u16 v24, v26 offset:16414
	s_waitcnt lgkmcnt(0)
	ds_write_b16 v26, v24 offset:17448
	s_waitcnt lgkmcnt(0)
	ds_write_b16 v26, v26 offset:16414
	s_waitcnt lgkmcnt(0)
	ds_read_u16 v24, v26 offset:16414
	ds_read_u16 v25, v26 offset:16398
	s_waitcnt lgkmcnt(1)
	ds_write_b16 v26, v24 offset:16398
	s_waitcnt lgkmcnt(1)
	v_add_u32_e32 v24, v24, v25
	ds_write_b16 v26, v24 offset:16414
.LBB0_143:                              ;   in Loop: Header=BB0_53 Depth=1
	s_or_b64 exec, exec, s[68:69]
	s_waitcnt lgkmcnt(0)
	s_barrier
	s_and_saveexec_b64 s[68:69], s[58:59]
	s_cbranch_execz .LBB0_145
; %bb.144:                              ;   in Loop: Header=BB0_53 Depth=1
	scratch_load_dword v28, off, off        ; 4-byte Folded Reload
	s_waitcnt vmcnt(0)
	ds_read_u16 v24, v28 offset:16382
	ds_read_u16 v25, v32 offset:16382
	s_waitcnt lgkmcnt(1)
	ds_write_b16 v32, v24 offset:16382
	s_waitcnt lgkmcnt(1)
	v_add_u16_e32 v24, v24, v25
	ds_write_b16 v28, v24 offset:16382
.LBB0_145:                              ;   in Loop: Header=BB0_53 Depth=1
	s_or_b64 exec, exec, s[68:69]
	s_waitcnt lgkmcnt(0)
	s_barrier
	s_and_saveexec_b64 s[68:69], s[56:57]
	s_cbranch_execz .LBB0_147
; %bb.146:                              ;   in Loop: Header=BB0_53 Depth=1
	ds_read_u16 v24, v127 offset:16382
	ds_read_u16 v25, v126 offset:16382
	s_waitcnt lgkmcnt(1)
	ds_write_b16 v126, v24 offset:16382
	s_waitcnt lgkmcnt(1)
	v_add_u16_e32 v24, v24, v25
	ds_write_b16 v127, v24 offset:16382
.LBB0_147:                              ;   in Loop: Header=BB0_53 Depth=1
	s_or_b64 exec, exec, s[68:69]
	s_waitcnt lgkmcnt(0)
	s_barrier
	s_and_saveexec_b64 s[68:69], s[54:55]
	s_cbranch_execz .LBB0_52
; %bb.148:                              ;   in Loop: Header=BB0_53 Depth=1
	ds_read_b32 v24, v51 offset:4096
	s_waitcnt lgkmcnt(0)
	v_add_u16_sdwa v25, v24, v24 dst_sel:DWORD dst_unused:UNUSED_PAD src0_sel:WORD_1 src1_sel:DWORD
	v_alignbit_b32 v24, v25, v24, 16
	ds_write_b32 v51, v24 offset:4096
	s_branch .LBB0_52
.LBB0_149:
	s_and_saveexec_b64 s[48:49], vcc
	s_cbranch_execnz .LBB0_173
; %bb.150:
	s_or_b64 exec, exec, s[48:49]
	s_and_saveexec_b64 s[48:49], s[0:1]
	s_cbranch_execnz .LBB0_174
.LBB0_151:
	s_or_b64 exec, exec, s[48:49]
	s_and_saveexec_b64 s[0:1], s[2:3]
	s_cbranch_execnz .LBB0_175
.LBB0_152:
	s_or_b64 exec, exec, s[0:1]
	s_and_saveexec_b64 s[0:1], s[4:5]
	s_cbranch_execnz .LBB0_176
.LBB0_153:
	s_or_b64 exec, exec, s[0:1]
	s_and_saveexec_b64 s[0:1], s[6:7]
	s_cbranch_execnz .LBB0_177
.LBB0_154:
	s_or_b64 exec, exec, s[0:1]
	s_and_saveexec_b64 s[0:1], s[8:9]
	s_cbranch_execnz .LBB0_178
.LBB0_155:
	s_or_b64 exec, exec, s[0:1]
	s_and_saveexec_b64 s[0:1], s[10:11]
	s_cbranch_execnz .LBB0_179
.LBB0_156:
	s_or_b64 exec, exec, s[0:1]
	s_and_saveexec_b64 s[0:1], s[12:13]
	s_cbranch_execnz .LBB0_180
.LBB0_157:
	s_or_b64 exec, exec, s[0:1]
	s_and_saveexec_b64 s[0:1], s[14:15]
	s_cbranch_execnz .LBB0_181
.LBB0_158:
	s_or_b64 exec, exec, s[0:1]
	s_and_saveexec_b64 s[0:1], s[16:17]
	s_cbranch_execnz .LBB0_182
.LBB0_159:
	s_or_b64 exec, exec, s[0:1]
	s_and_saveexec_b64 s[0:1], s[18:19]
	s_cbranch_execnz .LBB0_183
.LBB0_160:
	s_or_b64 exec, exec, s[0:1]
	s_and_saveexec_b64 s[0:1], s[20:21]
	s_cbranch_execnz .LBB0_184
.LBB0_161:
	s_or_b64 exec, exec, s[0:1]
	s_and_saveexec_b64 s[0:1], s[22:23]
	s_cbranch_execnz .LBB0_185
.LBB0_162:
	s_or_b64 exec, exec, s[0:1]
	s_and_saveexec_b64 s[0:1], s[24:25]
	s_cbranch_execnz .LBB0_186
.LBB0_163:
	s_or_b64 exec, exec, s[0:1]
	s_and_saveexec_b64 s[0:1], s[26:27]
	s_cbranch_execnz .LBB0_187
.LBB0_164:
	s_or_b64 exec, exec, s[0:1]
	s_and_saveexec_b64 s[0:1], s[28:29]
	s_cbranch_execnz .LBB0_188
.LBB0_165:
	s_or_b64 exec, exec, s[0:1]
	s_and_saveexec_b64 s[0:1], s[30:31]
	s_cbranch_execnz .LBB0_189
.LBB0_166:
	s_or_b64 exec, exec, s[0:1]
	s_and_saveexec_b64 s[0:1], s[34:35]
	s_cbranch_execnz .LBB0_190
.LBB0_167:
	s_or_b64 exec, exec, s[0:1]
	s_and_saveexec_b64 s[0:1], s[36:37]
	s_cbranch_execnz .LBB0_191
.LBB0_168:
	s_or_b64 exec, exec, s[0:1]
	s_and_saveexec_b64 s[0:1], s[38:39]
	s_cbranch_execnz .LBB0_192
.LBB0_169:
	s_or_b64 exec, exec, s[0:1]
	s_and_saveexec_b64 s[0:1], s[40:41]
	s_cbranch_execnz .LBB0_193
.LBB0_170:
	s_or_b64 exec, exec, s[0:1]
	s_and_saveexec_b64 s[0:1], s[42:43]
	s_cbranch_execnz .LBB0_194
.LBB0_171:
	s_or_b64 exec, exec, s[0:1]
	s_and_saveexec_b64 s[0:1], s[44:45]
	s_cbranch_execnz .LBB0_195
.LBB0_172:
	s_or_b64 exec, exec, s[0:1]
	s_and_saveexec_b64 s[0:1], s[46:47]
	s_cbranch_execz .LBB0_1
	s_branch .LBB0_196
.LBB0_173:
	scratch_load_dword v0, off, off offset:20 ; 4-byte Folded Reload
	s_waitcnt vmcnt(0) lgkmcnt(5)
	global_store_dword v0, v22, s[62:63]
	s_or_b64 exec, exec, s[48:49]
	s_and_saveexec_b64 s[48:49], s[0:1]
	s_cbranch_execz .LBB0_151
.LBB0_174:
	scratch_load_dword v0, off, off offset:20 ; 4-byte Folded Reload
	s_waitcnt vmcnt(0) lgkmcnt(5)
	global_store_dword v0, v23, s[62:63] offset:4
	s_or_b64 exec, exec, s[48:49]
	s_and_saveexec_b64 s[0:1], s[2:3]
	s_cbranch_execz .LBB0_152
.LBB0_175:
	scratch_load_dword v0, off, off offset:20 ; 4-byte Folded Reload
	s_waitcnt vmcnt(0) lgkmcnt(5)
	global_store_dword v0, v24, s[62:63] offset:8
	s_or_b64 exec, exec, s[0:1]
	s_and_saveexec_b64 s[0:1], s[4:5]
	s_cbranch_execz .LBB0_153
.LBB0_176:
	scratch_load_dword v0, off, off offset:20 ; 4-byte Folded Reload
	s_waitcnt vmcnt(0) lgkmcnt(5)
	global_store_dword v0, v25, s[62:63] offset:12
	s_or_b64 exec, exec, s[0:1]
	s_and_saveexec_b64 s[0:1], s[6:7]
	s_cbranch_execz .LBB0_154
.LBB0_177:
	scratch_load_dword v0, off, off offset:20 ; 4-byte Folded Reload
	s_waitcnt vmcnt(0) lgkmcnt(4)
	global_store_dword v0, v18, s[62:63] offset:16
	s_or_b64 exec, exec, s[0:1]
	s_and_saveexec_b64 s[0:1], s[8:9]
	s_cbranch_execz .LBB0_155
.LBB0_178:
	scratch_load_dword v0, off, off offset:20 ; 4-byte Folded Reload
	s_waitcnt vmcnt(0) lgkmcnt(4)
	global_store_dword v0, v19, s[62:63] offset:20
	s_or_b64 exec, exec, s[0:1]
	s_and_saveexec_b64 s[0:1], s[10:11]
	s_cbranch_execz .LBB0_156
.LBB0_179:
	scratch_load_dword v0, off, off offset:20 ; 4-byte Folded Reload
	s_waitcnt vmcnt(0) lgkmcnt(4)
	global_store_dword v0, v20, s[62:63] offset:24
	s_or_b64 exec, exec, s[0:1]
	s_and_saveexec_b64 s[0:1], s[12:13]
	s_cbranch_execz .LBB0_157
.LBB0_180:
	scratch_load_dword v0, off, off offset:20 ; 4-byte Folded Reload
	s_waitcnt vmcnt(0) lgkmcnt(4)
	global_store_dword v0, v21, s[62:63] offset:28
	s_or_b64 exec, exec, s[0:1]
	s_and_saveexec_b64 s[0:1], s[14:15]
	s_cbranch_execz .LBB0_158
.LBB0_181:
	scratch_load_dword v0, off, off offset:20 ; 4-byte Folded Reload
	s_waitcnt vmcnt(0) lgkmcnt(3)
	global_store_dword v0, v14, s[62:63] offset:32
	s_or_b64 exec, exec, s[0:1]
	s_and_saveexec_b64 s[0:1], s[16:17]
	s_cbranch_execz .LBB0_159
.LBB0_182:
	scratch_load_dword v0, off, off offset:20 ; 4-byte Folded Reload
	s_waitcnt vmcnt(0) lgkmcnt(3)
	global_store_dword v0, v15, s[62:63] offset:36
	s_or_b64 exec, exec, s[0:1]
	s_and_saveexec_b64 s[0:1], s[18:19]
	s_cbranch_execz .LBB0_160
.LBB0_183:
	scratch_load_dword v0, off, off offset:20 ; 4-byte Folded Reload
	s_waitcnt vmcnt(0) lgkmcnt(3)
	global_store_dword v0, v16, s[62:63] offset:40
	s_or_b64 exec, exec, s[0:1]
	s_and_saveexec_b64 s[0:1], s[20:21]
	s_cbranch_execz .LBB0_161
.LBB0_184:
	scratch_load_dword v0, off, off offset:20 ; 4-byte Folded Reload
	s_waitcnt vmcnt(0) lgkmcnt(3)
	global_store_dword v0, v17, s[62:63] offset:44
	s_or_b64 exec, exec, s[0:1]
	s_and_saveexec_b64 s[0:1], s[22:23]
	s_cbranch_execz .LBB0_162
.LBB0_185:
	scratch_load_dword v0, off, off offset:20 ; 4-byte Folded Reload
	s_waitcnt vmcnt(0) lgkmcnt(2)
	global_store_dword v0, v2, s[62:63] offset:48
	s_or_b64 exec, exec, s[0:1]
	s_and_saveexec_b64 s[0:1], s[24:25]
	s_cbranch_execz .LBB0_163
.LBB0_186:
	scratch_load_dword v0, off, off offset:20 ; 4-byte Folded Reload
	s_waitcnt vmcnt(0) lgkmcnt(2)
	global_store_dword v0, v3, s[62:63] offset:52
	s_or_b64 exec, exec, s[0:1]
	s_and_saveexec_b64 s[0:1], s[26:27]
	s_cbranch_execz .LBB0_164
.LBB0_187:
	scratch_load_dword v0, off, off offset:20 ; 4-byte Folded Reload
	s_waitcnt vmcnt(0) lgkmcnt(2)
	global_store_dword v0, v4, s[62:63] offset:56
	s_or_b64 exec, exec, s[0:1]
	s_and_saveexec_b64 s[0:1], s[28:29]
	s_cbranch_execz .LBB0_165
.LBB0_188:
	scratch_load_dword v0, off, off offset:20 ; 4-byte Folded Reload
	s_waitcnt vmcnt(0) lgkmcnt(2)
	global_store_dword v0, v5, s[62:63] offset:60
	s_or_b64 exec, exec, s[0:1]
	s_and_saveexec_b64 s[0:1], s[30:31]
	s_cbranch_execz .LBB0_166
.LBB0_189:
	scratch_load_dword v0, off, off offset:20 ; 4-byte Folded Reload
	s_waitcnt vmcnt(0) lgkmcnt(1)
	global_store_dword v0, v6, s[62:63] offset:64
	s_or_b64 exec, exec, s[0:1]
	s_and_saveexec_b64 s[0:1], s[34:35]
	s_cbranch_execz .LBB0_167
.LBB0_190:
	scratch_load_dword v0, off, off offset:20 ; 4-byte Folded Reload
	s_waitcnt vmcnt(0) lgkmcnt(1)
	global_store_dword v0, v7, s[62:63] offset:68
	s_or_b64 exec, exec, s[0:1]
	s_and_saveexec_b64 s[0:1], s[36:37]
	s_cbranch_execz .LBB0_168
.LBB0_191:
	scratch_load_dword v0, off, off offset:20 ; 4-byte Folded Reload
	s_waitcnt vmcnt(0) lgkmcnt(1)
	global_store_dword v0, v8, s[62:63] offset:72
	s_or_b64 exec, exec, s[0:1]
	s_and_saveexec_b64 s[0:1], s[38:39]
	s_cbranch_execz .LBB0_169
.LBB0_192:
	scratch_load_dword v0, off, off offset:20 ; 4-byte Folded Reload
	s_waitcnt vmcnt(0) lgkmcnt(1)
	global_store_dword v0, v9, s[62:63] offset:76
	s_or_b64 exec, exec, s[0:1]
	s_and_saveexec_b64 s[0:1], s[40:41]
	s_cbranch_execz .LBB0_170
.LBB0_193:
	scratch_load_dword v0, off, off offset:20 ; 4-byte Folded Reload
	s_waitcnt vmcnt(0) lgkmcnt(0)
	global_store_dword v0, v10, s[62:63] offset:80
	s_or_b64 exec, exec, s[0:1]
	s_and_saveexec_b64 s[0:1], s[42:43]
	s_cbranch_execz .LBB0_171
.LBB0_194:
	scratch_load_dword v0, off, off offset:20 ; 4-byte Folded Reload
	s_waitcnt vmcnt(0) lgkmcnt(0)
	global_store_dword v0, v11, s[62:63] offset:84
	s_or_b64 exec, exec, s[0:1]
	s_and_saveexec_b64 s[0:1], s[44:45]
	s_cbranch_execz .LBB0_172
.LBB0_195:
	scratch_load_dword v0, off, off offset:20 ; 4-byte Folded Reload
	s_waitcnt vmcnt(0) lgkmcnt(0)
	global_store_dword v0, v12, s[62:63] offset:88
	s_or_b64 exec, exec, s[0:1]
	s_and_saveexec_b64 s[0:1], s[46:47]
	s_cbranch_execz .LBB0_1
.LBB0_196:
	scratch_load_dword v0, off, off offset:20 ; 4-byte Folded Reload
	s_waitcnt vmcnt(0) lgkmcnt(0)
	global_store_dword v0, v13, s[62:63] offset:92
	s_endpgm
	.section	.rodata,"a",@progbits
	.p2align	6, 0x0
	.amdhsa_kernel SortSinglePassKernel
		.amdhsa_group_segment_fixed_size 17456
		.amdhsa_private_segment_fixed_size 28
		.amdhsa_kernarg_size 28
		.amdhsa_user_sgpr_count 2
		.amdhsa_user_sgpr_dispatch_ptr 0
		.amdhsa_user_sgpr_queue_ptr 0
		.amdhsa_user_sgpr_kernarg_segment_ptr 1
		.amdhsa_user_sgpr_dispatch_id 0
		.amdhsa_user_sgpr_kernarg_preload_length 0
		.amdhsa_user_sgpr_kernarg_preload_offset 0
		.amdhsa_user_sgpr_private_segment_size 0
		.amdhsa_uses_dynamic_stack 0
		.amdhsa_enable_private_segment 1
		.amdhsa_system_sgpr_workgroup_id_x 1
		.amdhsa_system_sgpr_workgroup_id_y 0
		.amdhsa_system_sgpr_workgroup_id_z 0
		.amdhsa_system_sgpr_workgroup_info 0
		.amdhsa_system_vgpr_workitem_id 0
		.amdhsa_next_free_vgpr 128
		.amdhsa_next_free_sgpr 72
		.amdhsa_accum_offset 128
		.amdhsa_reserve_vcc 1
		.amdhsa_float_round_mode_32 0
		.amdhsa_float_round_mode_16_64 0
		.amdhsa_float_denorm_mode_32 3
		.amdhsa_float_denorm_mode_16_64 3
		.amdhsa_dx10_clamp 1
		.amdhsa_ieee_mode 1
		.amdhsa_fp16_overflow 0
		.amdhsa_tg_split 0
		.amdhsa_exception_fp_ieee_invalid_op 0
		.amdhsa_exception_fp_denorm_src 0
		.amdhsa_exception_fp_ieee_div_zero 0
		.amdhsa_exception_fp_ieee_overflow 0
		.amdhsa_exception_fp_ieee_underflow 0
		.amdhsa_exception_fp_ieee_inexact 0
		.amdhsa_exception_int_div_zero 0
	.end_amdhsa_kernel
	.text
.Lfunc_end0:
	.size	SortSinglePassKernel, .Lfunc_end0-SortSinglePassKernel
                                        ; -- End function
	.set SortSinglePassKernel.num_vgpr, 128
	.set SortSinglePassKernel.num_agpr, 0
	.set SortSinglePassKernel.numbered_sgpr, 72
	.set SortSinglePassKernel.num_named_barrier, 0
	.set SortSinglePassKernel.private_seg_size, 28
	.set SortSinglePassKernel.uses_vcc, 1
	.set SortSinglePassKernel.uses_flat_scratch, 0
	.set SortSinglePassKernel.has_dyn_sized_stack, 0
	.set SortSinglePassKernel.has_recursion, 0
	.set SortSinglePassKernel.has_indirect_call, 0
	.section	.AMDGPU.csdata,"",@progbits
; Kernel info:
; codeLenInByte = 11556
; TotalNumSgprs: 78
; NumVgprs: 128
; NumAgprs: 0
; TotalNumVgprs: 128
; ScratchSize: 28
; MemoryBound: 0
; FloatMode: 240
; IeeeMode: 1
; LDSByteSize: 17456 bytes/workgroup (compile time only)
; SGPRBlocks: 9
; VGPRBlocks: 15
; NumSGPRsForWavesPerEU: 78
; NumVGPRsForWavesPerEU: 128
; AccumOffset: 128
; Occupancy: 4
; WaveLimiterHint : 0
; COMPUTE_PGM_RSRC2:SCRATCH_EN: 1
; COMPUTE_PGM_RSRC2:USER_SGPR: 2
; COMPUTE_PGM_RSRC2:TRAP_HANDLER: 0
; COMPUTE_PGM_RSRC2:TGID_X_EN: 1
; COMPUTE_PGM_RSRC2:TGID_Y_EN: 0
; COMPUTE_PGM_RSRC2:TGID_Z_EN: 0
; COMPUTE_PGM_RSRC2:TIDIG_COMP_CNT: 0
; COMPUTE_PGM_RSRC3_GFX90A:ACCUM_OFFSET: 31
; COMPUTE_PGM_RSRC3_GFX90A:TG_SPLIT: 0
	.text
	.protected	SortSinglePassKVKernel  ; -- Begin function SortSinglePassKVKernel
	.globl	SortSinglePassKVKernel
	.p2align	8
	.type	SortSinglePassKVKernel,@function
SortSinglePassKVKernel:                 ; @SortSinglePassKVKernel
; %bb.0:
	s_cmp_lg_u32 s2, 0
	s_cbranch_scc0 .LBB1_2
.LBB1_1:
	s_endpgm
.LBB1_2:
	s_load_dwordx4 s[68:71], s[0:1], 0x20
	s_load_dwordx8 s[60:67], s[0:1], 0x0
	v_mul_u32_u24_e32 v1, 24, v0
	v_mov_b32_e32 v3, -1
	v_lshlrev_b32_e32 v56, 2, v1
	s_waitcnt lgkmcnt(0)
	v_cmp_gt_i32_e32 vcc, s68, v1
	v_mov_b32_e32 v2, -1
	v_mov_b32_e32 v10, -1
	s_and_saveexec_b64 s[0:1], vcc
	s_cbranch_execz .LBB1_4
; %bb.3:
	global_load_dword v2, v56, s[60:61]
	global_load_dword v10, v56, s[62:63]
.LBB1_4:
	s_or_b64 exec, exec, s[0:1]
	v_or_b32_e32 v4, 1, v1
	v_cmp_gt_i32_e64 s[0:1], s68, v4
	v_mov_b32_e32 v11, -1
	s_waitcnt vmcnt(0)
	ds_write2st64_b32 v56, v2, v10 offset1:48
	s_and_saveexec_b64 s[2:3], s[0:1]
	s_cbranch_execz .LBB1_6
; %bb.5:
	global_load_dword v3, v56, s[60:61] offset:4
	global_load_dword v11, v56, s[62:63] offset:4
.LBB1_6:
	s_or_b64 exec, exec, s[2:3]
	v_add_u32_e32 v4, 0x3000, v56
	s_waitcnt vmcnt(0)
	ds_write_b32 v4, v11 offset:4
	v_or_b32_e32 v4, 2, v1
	v_cmp_gt_i32_e64 s[2:3], s68, v4
	v_mov_b32_e32 v5, -1
	v_mov_b32_e32 v4, -1
	v_mov_b32_e32 v12, -1
	ds_write_b32 v56, v3 offset:4
	s_and_saveexec_b64 s[4:5], s[2:3]
	s_cbranch_execz .LBB1_8
; %bb.7:
	global_load_dword v4, v56, s[60:61] offset:8
	global_load_dword v12, v56, s[62:63] offset:8
.LBB1_8:
	s_or_b64 exec, exec, s[4:5]
	v_add_u32_e32 v6, 0x3000, v56
	s_waitcnt vmcnt(0)
	ds_write_b32 v6, v12 offset:8
	v_or_b32_e32 v6, 3, v1
	v_cmp_gt_i32_e64 s[4:5], s68, v6
	v_mov_b32_e32 v13, -1
	ds_write_b32 v56, v4 offset:8
	s_and_saveexec_b64 s[6:7], s[4:5]
	s_cbranch_execz .LBB1_10
; %bb.9:
	global_load_dword v5, v56, s[60:61] offset:12
	global_load_dword v13, v56, s[62:63] offset:12
.LBB1_10:
	s_or_b64 exec, exec, s[6:7]
	v_add_u32_e32 v6, 0x3000, v56
	s_waitcnt vmcnt(0)
	ds_write_b32 v6, v13 offset:12
	v_or_b32_e32 v6, 4, v1
	v_cmp_gt_i32_e64 s[6:7], s68, v6
	v_mov_b32_e32 v7, -1
	v_mov_b32_e32 v6, -1
	v_mov_b32_e32 v18, -1
	ds_write_b32 v56, v5 offset:12
	s_and_saveexec_b64 s[8:9], s[6:7]
	s_cbranch_execz .LBB1_12
; %bb.11:
	global_load_dword v6, v56, s[60:61] offset:16
	global_load_dword v18, v56, s[62:63] offset:16
.LBB1_12:
	s_or_b64 exec, exec, s[8:9]
	v_add_u32_e32 v8, 0x3000, v56
	s_waitcnt vmcnt(0)
	ds_write_b32 v8, v18 offset:16
	v_or_b32_e32 v8, 5, v1
	v_cmp_gt_i32_e64 s[8:9], s68, v8
	v_mov_b32_e32 v19, -1
	ds_write_b32 v56, v6 offset:16
	;; [unrolled: 30-line block ×3, first 2 shown]
	s_and_saveexec_b64 s[14:15], s[12:13]
	s_cbranch_execz .LBB1_18
; %bb.17:
	global_load_dword v9, v56, s[60:61] offset:28
	global_load_dword v21, v56, s[62:63] offset:28
.LBB1_18:
	s_or_b64 exec, exec, s[14:15]
	v_add_u32_e32 v14, 0x3000, v56
	s_waitcnt vmcnt(0)
	ds_write_b32 v14, v21 offset:28
	v_add_u32_e32 v14, 8, v1
	v_cmp_gt_i32_e64 s[14:15], s68, v14
	v_mov_b32_e32 v15, -1
	v_mov_b32_e32 v14, -1
	v_mov_b32_e32 v26, -1
	ds_write_b32 v56, v9 offset:28
	s_and_saveexec_b64 s[16:17], s[14:15]
	s_cbranch_execz .LBB1_20
; %bb.19:
	global_load_dword v14, v56, s[60:61] offset:32
	global_load_dword v26, v56, s[62:63] offset:32
.LBB1_20:
	s_or_b64 exec, exec, s[16:17]
	v_add_u32_e32 v16, 0x3000, v56
	s_waitcnt vmcnt(0)
	ds_write_b32 v16, v26 offset:32
	v_add_u32_e32 v16, 9, v1
	v_cmp_gt_i32_e64 s[16:17], s68, v16
	v_mov_b32_e32 v27, -1
	ds_write_b32 v56, v14 offset:32
	s_and_saveexec_b64 s[18:19], s[16:17]
	s_cbranch_execz .LBB1_22
; %bb.21:
	global_load_dword v15, v56, s[60:61] offset:36
	global_load_dword v27, v56, s[62:63] offset:36
.LBB1_22:
	s_or_b64 exec, exec, s[18:19]
	v_add_u32_e32 v16, 0x3000, v56
	s_waitcnt vmcnt(0)
	ds_write_b32 v16, v27 offset:36
	v_add_u32_e32 v16, 10, v1
	v_cmp_gt_i32_e64 s[18:19], s68, v16
	v_mov_b32_e32 v17, -1
	v_mov_b32_e32 v16, -1
	v_mov_b32_e32 v28, -1
	ds_write_b32 v56, v15 offset:36
	s_and_saveexec_b64 s[20:21], s[18:19]
	s_cbranch_execz .LBB1_24
; %bb.23:
	global_load_dword v16, v56, s[60:61] offset:40
	global_load_dword v28, v56, s[62:63] offset:40
.LBB1_24:
	s_or_b64 exec, exec, s[20:21]
	v_add_u32_e32 v22, 0x3000, v56
	s_waitcnt vmcnt(0)
	ds_write_b32 v22, v28 offset:40
	v_add_u32_e32 v22, 11, v1
	v_cmp_gt_i32_e64 s[20:21], s68, v22
	v_mov_b32_e32 v29, -1
	ds_write_b32 v56, v16 offset:40
	;; [unrolled: 30-line block ×7, first 2 shown]
	s_and_saveexec_b64 s[44:45], s[42:43]
	s_cbranch_execz .LBB1_46
; %bb.45:
	global_load_dword v43, v56, s[60:61] offset:84
	global_load_dword v47, v56, s[62:63] offset:84
.LBB1_46:
	s_or_b64 exec, exec, s[44:45]
	v_add_u32_e32 v44, 0x3000, v56
	s_waitcnt vmcnt(0)
	ds_write_b32 v44, v47 offset:84
	v_add_u32_e32 v44, 22, v1
	v_cmp_gt_i32_e64 s[44:45], s68, v44
	v_mov_b32_e32 v45, -1
	v_mov_b32_e32 v44, -1
	;; [unrolled: 1-line block ×3, first 2 shown]
	ds_write_b32 v56, v43 offset:84
	s_and_saveexec_b64 s[46:47], s[44:45]
	s_cbranch_execz .LBB1_48
; %bb.47:
	global_load_dword v44, v56, s[60:61] offset:88
	global_load_dword v48, v56, s[62:63] offset:88
.LBB1_48:
	s_or_b64 exec, exec, s[46:47]
	v_add_u32_e32 v49, 0x3000, v56
	v_add_u32_e32 v1, 23, v1
	s_waitcnt vmcnt(0)
	ds_write_b32 v49, v48 offset:88
	v_cmp_gt_i32_e64 s[46:47], s68, v1
	v_mov_b32_e32 v49, -1
	ds_write_b32 v56, v44 offset:88
	s_and_saveexec_b64 s[48:49], s[46:47]
	s_cbranch_execz .LBB1_50
; %bb.49:
	global_load_dword v45, v56, s[60:61] offset:92
	global_load_dword v49, v56, s[62:63] offset:92
.LBB1_50:
	s_or_b64 exec, exec, s[48:49]
	v_add_u32_e32 v1, 0x3000, v56
	s_cmp_lt_i32 s69, s70
	s_waitcnt vmcnt(1)
	ds_write_b32 v56, v45 offset:92
	s_waitcnt vmcnt(0)
	ds_write_b32 v1, v49 offset:92
	s_waitcnt lgkmcnt(0)
	s_barrier
	s_cbranch_scc0 .LBB1_149
; %bb.51:
	v_mov_b32_e32 v1, 0x6000
	v_lshl_add_u32 v58, v0, 5, v1
	v_lshlrev_b32_e32 v1, 1, v0
	v_or_b32_e32 v50, 1, v1
	s_mov_b32 s62, 0
	v_add_u32_e32 v1, 2, v1
	v_lshlrev_b32_e32 v62, 4, v50
	v_lshlrev_b32_e32 v64, 5, v50
	;; [unrolled: 1-line block ×7, first 2 shown]
	s_mov_b32 s63, s62
	v_lshlrev_b32_e32 v59, 3, v0
	v_cmp_gt_u32_e64 s[48:49], 64, v0
	v_cmp_gt_u32_e64 s[50:51], 32, v0
	;; [unrolled: 1-line block ×6, first 2 shown]
	v_cmp_eq_u32_e64 s[60:61], 0, v0
	v_mul_i32_i24_e32 v0, 0xffffffe4, v0
	scratch_store_dword off, v51, off       ; 4-byte Folded Spill
	v_lshlrev_b32_e32 v51, 2, v1
	scratch_store_dword off, v50, off offset:8 ; 4-byte Folded Spill
	v_mov_b32_e32 v50, 0
	s_mov_b32 s72, s62
	s_mov_b32 s73, s62
	v_mov_b64_e32 v[52:53], s[62:63]
	v_add_u32_e32 v60, 0x7020, v59
	v_lshlrev_b32_e32 v61, 4, v1
	v_lshlrev_b32_e32 v63, 5, v1
	;; [unrolled: 1-line block ×5, first 2 shown]
	scratch_store_dword off, v51, off offset:4 ; 4-byte Folded Spill
	v_lshlrev_b32_e32 v1, 3, v1
	scratch_store_dwordx2 off, v[52:53], off offset:96 ; 8-byte Folded Spill
	v_mov_b64_e32 v[52:53], s[72:73]
	v_mov_b32_e32 v51, v50
	v_add_u32_e32 v0, v58, v0
	scratch_store_dword off, v1, off offset:12 ; 4-byte Folded Spill
	scratch_store_dwordx2 off, v[52:53], off offset:104 ; 8-byte Folded Spill
	scratch_store_dword off, v0, off offset:16 ; 4-byte Folded Spill
	s_branch .LBB1_53
.LBB1_52:                               ;   in Loop: Header=BB1_53 Depth=1
	s_or_b64 exec, exec, s[62:63]
	s_waitcnt lgkmcnt(0)
	s_barrier
	s_barrier
	;; [unrolled: 1-line block ×3, first 2 shown]
	scratch_load_dword v48, off, off offset:68 ; 4-byte Folded Reload
	scratch_load_dword v49, off, off offset:72 ; 4-byte Folded Reload
	s_add_i32 s69, s69, 8
	s_cmp_ge_i32 s69, s70
	s_waitcnt vmcnt(0)
	v_lshl_or_b32 v48, v48, 3, v49
	ds_read_u16 v48, v48 offset:28672
	ds_read_u16 v49, v87
	s_waitcnt lgkmcnt(0)
	v_add_u16_e32 v94, 1, v49
	v_and_b32_e32 v49, 0xffff, v49
	v_add_lshl_u32 v48, v49, v48, 2
	ds_write_b16 v87, v94
	ds_write2st64_b32 v48, v0, v44 offset1:48
	scratch_load_dword v0, off, off offset:44 ; 4-byte Folded Reload
	scratch_load_dword v44, off, off offset:48 ; 4-byte Folded Reload
	s_waitcnt vmcnt(0)
	v_lshl_or_b32 v0, v0, 3, v44
	ds_read_u16 v0, v0 offset:28672
	ds_read_u16 v44, v81
	s_waitcnt lgkmcnt(0)
	v_add_u16_e32 v48, 1, v44
	v_and_b32_e32 v44, 0xffff, v44
	v_add_lshl_u32 v0, v44, v0, 2
	ds_write_b16 v81, v48
	ds_write2st64_b32 v0, v1, v45 offset1:48
	scratch_load_dword v0, off, off offset:28 ; 4-byte Folded Reload
	scratch_load_dword v1, off, off offset:36 ; 4-byte Folded Reload
	;; [unrolled: 12-line block ×3, first 2 shown]
	s_waitcnt vmcnt(0)
	v_lshl_or_b32 v0, v0, 3, v1
	ds_read_u16 v0, v0 offset:28672
	ds_read_u16 v1, v76
	s_waitcnt lgkmcnt(0)
	v_add_u16_e32 v2, 1, v1
	v_and_b32_e32 v1, 0xffff, v1
	v_add_lshl_u32 v0, v1, v0, 2
	ds_write_b16 v76, v2
	ds_write2st64_b32 v0, v3, v47 offset1:48
	v_lshl_or_b32 v0, v53, 3, v54
	ds_read_u16 v0, v0 offset:28672
	ds_read_u16 v1, v124
	s_waitcnt lgkmcnt(0)
	v_add_u16_e32 v2, 1, v1
	v_and_b32_e32 v1, 0xffff, v1
	v_add_lshl_u32 v0, v1, v0, 2
	ds_write_b16 v124, v2
	ds_write2st64_b32 v0, v20, v40 offset1:48
	;; [unrolled: 9-line block ×4, first 2 shown]
	scratch_load_dword v0, off, off offset:76 ; 4-byte Folded Reload
	scratch_load_dword v1, off, off offset:84 ; 4-byte Folded Reload
	s_waitcnt vmcnt(0)
	v_lshl_or_b32 v0, v0, 3, v1
	ds_read_u16 v0, v0 offset:28672
	ds_read_u16 v1, v102
	s_waitcnt lgkmcnt(0)
	v_add_u16_e32 v2, 1, v1
	v_and_b32_e32 v1, 0xffff, v1
	v_add_lshl_u32 v0, v1, v0, 2
	ds_write_b16 v102, v2
	ds_write2st64_b32 v0, v23, v43 offset1:48
	v_lshl_or_b32 v0, v83, 3, v84
	ds_read_u16 v0, v0 offset:28672
	ds_read_u16 v1, v82
	s_waitcnt lgkmcnt(0)
	v_add_u16_e32 v2, 1, v1
	v_and_b32_e32 v1, 0xffff, v1
	v_add_lshl_u32 v0, v1, v0, 2
	ds_write_b16 v82, v2
	ds_write2st64_b32 v0, v16, v36 offset1:48
	;; [unrolled: 9-line block ×6, first 2 shown]
	v_lshl_or_b32 v0, v117, 3, v120
	ds_read_u16 v0, v0 offset:28672
	ds_read_u16 v1, v107
	s_waitcnt lgkmcnt(0)
	v_add_u16_e32 v2, 1, v1
	v_and_b32_e32 v1, 0xffff, v1
	v_add_lshl_u32 v0, v1, v0, 2
	ds_write2st64_b32 v0, v13, v33 offset1:48
	scratch_load_dword v0, off, off offset:92 ; 4-byte Folded Reload
	ds_write_b16 v107, v2
	s_waitcnt vmcnt(0)
	v_lshl_or_b32 v0, v0, 3, v109
	ds_read_u16 v0, v0 offset:28672
	ds_read_u16 v1, v95
	s_waitcnt lgkmcnt(0)
	v_add_u16_e32 v2, 1, v1
	v_and_b32_e32 v1, 0xffff, v1
	v_add_lshl_u32 v0, v1, v0, 2
	ds_write_b16 v95, v2
	ds_write2st64_b32 v0, v14, v34 offset1:48
	scratch_load_dword v0, off, off offset:60 ; 4-byte Folded Reload
	scratch_load_dword v1, off, off offset:64 ; 4-byte Folded Reload
	s_waitcnt vmcnt(0)
	v_lshl_or_b32 v0, v0, 3, v1
	ds_read_u16 v0, v0 offset:28672
	ds_read_u16 v1, v89
	s_waitcnt lgkmcnt(0)
	v_add_u16_e32 v2, 1, v1
	v_and_b32_e32 v1, 0xffff, v1
	v_add_lshl_u32 v0, v1, v0, 2
	ds_write_b16 v89, v2
	ds_write2st64_b32 v0, v15, v35 offset1:48
	v_lshl_or_b32 v0, v104, 3, v108
	ds_read_u16 v0, v0 offset:28672
	ds_read_u16 v1, v103
	s_waitcnt lgkmcnt(0)
	v_add_u16_e32 v2, 1, v1
	v_and_b32_e32 v1, 0xffff, v1
	v_add_lshl_u32 v0, v1, v0, 2
	ds_write_b16 v103, v2
	ds_write2st64_b32 v0, v8, v28 offset1:48
	scratch_load_dword v0, off, off offset:80 ; 4-byte Folded Reload
	scratch_load_dword v1, off, off offset:88 ; 4-byte Folded Reload
	s_waitcnt vmcnt(0)
	v_lshl_or_b32 v0, v0, 3, v1
	ds_read_u16 v0, v0 offset:28672
	ds_read_u16 v1, v91
	s_waitcnt lgkmcnt(0)
	v_add_u16_e32 v2, 1, v1
	v_and_b32_e32 v1, 0xffff, v1
	v_add_lshl_u32 v0, v1, v0, 2
	ds_write_b16 v91, v2
	ds_write2st64_b32 v0, v9, v29 offset1:48
	scratch_load_dword v0, off, off offset:52 ; 4-byte Folded Reload
	scratch_load_dword v1, off, off offset:56 ; 4-byte Folded Reload
	s_waitcnt vmcnt(0)
	;; [unrolled: 12-line block ×3, first 2 shown]
	v_lshl_or_b32 v0, v0, 3, v1
	ds_read_u16 v0, v0 offset:28672
	ds_read_u16 v1, v80
	s_waitcnt lgkmcnt(0)
	v_add_u16_e32 v2, 1, v1
	v_and_b32_e32 v1, 0xffff, v1
	v_add_lshl_u32 v0, v1, v0, 2
	ds_write_b16 v80, v2
	ds_write2st64_b32 v0, v11, v31 offset1:48
	v_lshl_or_b32 v0, v92, 3, v93
	ds_read_u16 v0, v0 offset:28672
	ds_read_u16 v1, v88
	s_waitcnt lgkmcnt(0)
	v_add_u16_e32 v2, 1, v1
	v_and_b32_e32 v1, 0xffff, v1
	v_add_lshl_u32 v0, v1, v0, 2
	ds_write_b16 v88, v2
	ds_write2st64_b32 v0, v4, v24 offset1:48
	;; [unrolled: 9-line block ×4, first 2 shown]
	v_lshl_or_b32 v0, v71, 3, v72
	ds_read_u16 v0, v0 offset:28672
	ds_read_u16 v1, v55
	s_waitcnt lgkmcnt(0)
	v_add_u16_e32 v2, 1, v1
	v_and_b32_e32 v1, 0xffff, v1
	v_add_lshl_u32 v0, v1, v0, 2
	ds_write2st64_b32 v0, v7, v27 offset1:48
	v_add_u32_e32 v0, 0x3000, v56
	ds_write_b16 v55, v2
	s_waitcnt lgkmcnt(0)
	s_barrier
	ds_read_b128 v[2:5], v56
	ds_read_b128 v[6:9], v56 offset:16
	ds_read_b128 v[14:17], v56 offset:32
	;; [unrolled: 1-line block ×3, first 2 shown]
	ds_read_b128 v[10:13], v0
	ds_read_b128 v[18:21], v0 offset:16
	ds_read_b128 v[26:29], v0 offset:32
	;; [unrolled: 1-line block ×7, first 2 shown]
	s_cbranch_scc1 .LBB1_149
.LBB1_53:                               ; =>This Loop Header: Depth=1
                                        ;     Child Loop BB1_55 Depth 2
                                        ;     Child Loop BB1_103 Depth 2
	scratch_load_dwordx2 v[0:1], off, off offset:96 ; 8-byte Folded Reload
	scratch_load_dwordx2 v[52:53], off, off offset:104 ; 8-byte Folded Reload
	s_mov_b32 s33, 0
	s_waitcnt vmcnt(0)
	ds_write2_b64 v58, v[0:1], v[52:53] offset1:1
	ds_write2_b64 v58, v[0:1], v[52:53] offset0:2 offset1:3
	s_waitcnt lgkmcnt(13)
	v_ashrrev_i32_e32 v0, s69, v2
	v_and_b32_e32 v1, 3, v0
	v_lshrrev_b32_e32 v0, 2, v0
	v_and_b32_e32 v93, 3, v0
	v_lshlrev_b32_e32 v0, 3, v93
	v_lshlrev_b32_e32 v94, 1, v1
	v_add3_u32 v84, v58, v0, v94
	ds_read_u16 v0, v84
	v_ashrrev_i32_e32 v1, s69, v3
	v_lshrrev_b32_e32 v52, 2, v1
	v_and_b32_e32 v89, 3, v52
	s_waitcnt lgkmcnt(0)
	v_add_u16_e32 v0, 1, v0
	ds_write_b16 v84, v0
	v_and_b32_e32 v0, 3, v1
	v_lshlrev_b32_e32 v1, 3, v89
	v_lshlrev_b32_e32 v92, 1, v0
	v_add3_u32 v124, v58, v1, v92
	ds_read_u16 v0, v124
	s_waitcnt lgkmcnt(0)
	v_add_u16_e32 v0, 1, v0
	ds_write_b16 v124, v0
	v_ashrrev_i32_e32 v0, s69, v4
	v_and_b32_e32 v1, 3, v0
	v_lshrrev_b32_e32 v0, 2, v0
	v_and_b32_e32 v90, 3, v0
	v_lshlrev_b32_e32 v0, 3, v90
	v_lshlrev_b32_e32 v91, 1, v1
	v_add3_u32 v123, v58, v0, v91
	ds_read_u16 v0, v123
	v_ashrrev_i32_e32 v1, s69, v5
	v_lshrrev_b32_e32 v52, 2, v1
	v_and_b32_e32 v125, 3, v52
	s_waitcnt lgkmcnt(0)
	v_add_u16_e32 v0, 1, v0
	ds_write_b16 v123, v0
	v_and_b32_e32 v0, 3, v1
	v_lshlrev_b32_e32 v1, 3, v125
	v_lshlrev_b32_e32 v87, 1, v0
	v_add3_u32 v118, v58, v1, v87
	ds_read_u16 v0, v118
	s_waitcnt lgkmcnt(0)
	v_add_u16_e32 v0, 1, v0
	ds_write_b16 v118, v0
	;; [unrolled: 22-line block ×5, first 2 shown]
	v_ashrrev_i32_e32 v0, s69, v16
	v_and_b32_e32 v1, 3, v0
	v_lshrrev_b32_e32 v0, 2, v0
	v_and_b32_e32 v0, 3, v0
	scratch_store_dword off, v0, off offset:76 ; 4-byte Folded Spill
	v_lshlrev_b32_e32 v0, 3, v0
	v_lshlrev_b32_e32 v109, 1, v1
	v_add3_u32 v80, v58, v0, v109
	ds_read_u16 v0, v80
	v_ashrrev_i32_e32 v1, s69, v17
	v_lshrrev_b32_e32 v57, 2, v1
	v_and_b32_e32 v57, 3, v57
	scratch_store_dword off, v57, off offset:24 ; 4-byte Folded Spill
	s_waitcnt lgkmcnt(0)
	v_add_u16_e32 v0, 1, v0
	ds_write_b16 v80, v0
	v_and_b32_e32 v0, 3, v1
	v_lshlrev_b32_e32 v1, 3, v57
	v_lshlrev_b32_e32 v0, 1, v0
	v_add3_u32 v72, v58, v1, v0
	scratch_store_dword off, v0, off offset:80 ; 4-byte Folded Spill
	ds_read_u16 v0, v72
	s_waitcnt lgkmcnt(0)
	v_add_u16_e32 v0, 1, v0
	ds_write_b16 v72, v0
	v_ashrrev_i32_e32 v0, s69, v22
	v_and_b32_e32 v1, 3, v0
	v_lshrrev_b32_e32 v0, 2, v0
	v_and_b32_e32 v0, 3, v0
	scratch_store_dword off, v0, off offset:56 ; 4-byte Folded Spill
	v_lshlrev_b32_e32 v0, 3, v0
	v_lshlrev_b32_e32 v105, 1, v1
	v_add3_u32 v76, v58, v0, v105
	ds_read_u16 v0, v76
	v_ashrrev_i32_e32 v1, s69, v23
	v_lshrrev_b32_e32 v57, 2, v1
	v_and_b32_e32 v57, 3, v57
	scratch_store_dword off, v57, off offset:20 ; 4-byte Folded Spill
	s_waitcnt lgkmcnt(0)
	v_add_u16_e32 v0, 1, v0
	ds_write_b16 v76, v0
	v_and_b32_e32 v0, 3, v1
	v_lshlrev_b32_e32 v1, 3, v57
	v_lshlrev_b32_e32 v0, 1, v0
	v_add3_u32 v57, v58, v1, v0
	scratch_store_dword off, v0, off offset:60 ; 4-byte Folded Spill
	ds_read_u16 v0, v57
	s_waitcnt lgkmcnt(0)
	v_add_u16_e32 v0, 1, v0
	ds_write_b16 v57, v0
	v_ashrrev_i32_e32 v0, s69, v24
	v_and_b32_e32 v1, 3, v0
	v_lshrrev_b32_e32 v0, 2, v0
	v_and_b32_e32 v0, 3, v0
	scratch_store_dword off, v0, off offset:40 ; 4-byte Folded Spill
	v_lshlrev_b32_e32 v0, 3, v0
	v_lshlrev_b32_e32 v1, 1, v1
	v_add3_u32 v73, v58, v0, v1
	ds_read_u16 v0, v73
	scratch_store_dword off, v1, off offset:84 ; 4-byte Folded Spill
	v_ashrrev_i32_e32 v1, s69, v25
	s_waitcnt lgkmcnt(0)
	v_add_u16_e32 v0, 1, v0
	ds_write_b16 v73, v0
	v_lshrrev_b32_e32 v0, 2, v1
	v_and_b32_e32 v71, 3, v0
	v_and_b32_e32 v0, 3, v1
	v_lshlrev_b32_e32 v1, 1, v0
	v_lshlrev_b32_e32 v0, 3, v71
	scratch_store_dword off, v71, off offset:28 ; 4-byte Folded Spill
	v_add3_u32 v71, v58, v0, v1
	ds_read_u16 v0, v71
	scratch_store_dword off, v1, off offset:44 ; 4-byte Folded Spill
	s_waitcnt lgkmcnt(0)
	v_add_u16_e32 v0, 1, v0
	ds_write_b16 v71, v0
	v_ashrrev_i32_e32 v0, s69, v34
	v_and_b32_e32 v1, 3, v0
	v_lshrrev_b32_e32 v0, 2, v0
	v_and_b32_e32 v0, 3, v0
	v_lshlrev_b32_e32 v1, 1, v1
	scratch_store_dword off, v0, off offset:48 ; 4-byte Folded Spill
	v_lshlrev_b32_e32 v0, 3, v0
	v_add3_u32 v77, v58, v0, v1
	ds_read_u16 v0, v77
	scratch_store_dword off, v1, off offset:88 ; 4-byte Folded Spill
	s_waitcnt lgkmcnt(0)
	v_add_u16_e32 v0, 1, v0
	ds_write_b16 v77, v0
	v_ashrrev_i32_e32 v0, s69, v35
	v_lshrrev_b32_e32 v1, 2, v0
	v_and_b32_e32 v1, 3, v1
	v_and_b32_e32 v0, 3, v0
	v_lshlrev_b32_e32 v74, 1, v0
	v_lshlrev_b32_e32 v0, 3, v1
	scratch_store_dword off, v74, off offset:64 ; 4-byte Folded Spill
	v_add3_u32 v74, v58, v0, v74
	ds_read_u16 v0, v74
	scratch_store_dword off, v1, off offset:32 ; 4-byte Folded Spill
	s_waitcnt lgkmcnt(0)
	v_add_u16_e32 v0, 1, v0
	ds_write_b16 v74, v0
	v_ashrrev_i32_e32 v0, s69, v36
	v_and_b32_e32 v1, 3, v0
	v_lshrrev_b32_e32 v0, 2, v0
	v_and_b32_e32 v0, 3, v0
	v_lshlrev_b32_e32 v106, 1, v1
	scratch_store_dword off, v0, off offset:68 ; 4-byte Folded Spill
	v_lshlrev_b32_e32 v0, 3, v0
	v_add3_u32 v81, v58, v0, v106
	ds_read_u16 v0, v81
	s_waitcnt lgkmcnt(0)
	v_add_u16_e32 v0, 1, v0
	ds_write_b16 v81, v0
	v_ashrrev_i32_e32 v0, s69, v37
	v_lshrrev_b32_e32 v1, 2, v0
	v_and_b32_e32 v1, 3, v1
	v_and_b32_e32 v0, 3, v0
	v_lshlrev_b32_e32 v78, 1, v0
	v_lshlrev_b32_e32 v0, 3, v1
	scratch_store_dword off, v78, off offset:92 ; 4-byte Folded Spill
	v_add3_u32 v78, v58, v0, v78
	ds_read_u16 v0, v78
	scratch_store_dword off, v1, off offset:36 ; 4-byte Folded Spill
	s_waitcnt lgkmcnt(0)
	v_add_u16_e32 v0, 1, v0
	ds_write_b16 v78, v0
	v_ashrrev_i32_e32 v0, s69, v42
	v_and_b32_e32 v1, 3, v0
	v_lshrrev_b32_e32 v0, 2, v0
	v_and_b32_e32 v104, 3, v0
	v_lshlrev_b32_e32 v110, 1, v1
	v_lshlrev_b32_e32 v0, 3, v104
	v_add3_u32 v85, v58, v0, v110
	ds_read_u16 v0, v85
	s_waitcnt lgkmcnt(0)
	v_add_u16_e32 v0, 1, v0
	ds_write_b16 v85, v0
	v_ashrrev_i32_e32 v0, s69, v43
	v_lshrrev_b32_e32 v1, 2, v0
	v_and_b32_e32 v1, 3, v1
	v_and_b32_e32 v0, 3, v0
	v_lshlrev_b32_e32 v107, 1, v0
	v_lshlrev_b32_e32 v0, 3, v1
	v_add3_u32 v82, v58, v0, v107
	ds_read_u16 v0, v82
	scratch_store_dword off, v1, off offset:52 ; 4-byte Folded Spill
	s_waitcnt lgkmcnt(0)
	v_add_u16_e32 v0, 1, v0
	ds_write_b16 v82, v0
	v_ashrrev_i32_e32 v0, s69, v44
	v_and_b32_e32 v1, 3, v0
	v_lshrrev_b32_e32 v0, 2, v0
	v_and_b32_e32 v108, 3, v0
	v_lshlrev_b32_e32 v112, 1, v1
	v_lshlrev_b32_e32 v0, 3, v108
	v_add3_u32 v88, v58, v0, v112
	ds_read_u16 v0, v88
	s_waitcnt lgkmcnt(0)
	v_add_u16_e32 v0, 1, v0
	ds_write_b16 v88, v0
	v_ashrrev_i32_e32 v0, s69, v45
	v_lshrrev_b32_e32 v1, 2, v0
	v_and_b32_e32 v1, 3, v1
	v_and_b32_e32 v0, 3, v0
	v_lshlrev_b32_e32 v111, 1, v0
	v_lshlrev_b32_e32 v0, 3, v1
	v_add3_u32 v86, v58, v0, v111
	ds_read_u16 v0, v86
	scratch_store_dword off, v1, off offset:72 ; 4-byte Folded Spill
	s_waitcnt lgkmcnt(0)
	v_add_u16_e32 v0, 1, v0
	ds_write_b16 v86, v0
	s_waitcnt lgkmcnt(0)
	s_barrier
	s_branch .LBB1_55
.LBB1_54:                               ;   in Loop: Header=BB1_55 Depth=2
	s_or_b64 exec, exec, s[62:63]
	s_add_i32 s33, s33, 8
	s_cmp_eq_u32 s33, 32
	s_cbranch_scc1 .LBB1_85
.LBB1_55:                               ;   Parent Loop BB1_53 Depth=1
                                        ; =>  This Inner Loop Header: Depth=2
	v_add_u32_e32 v95, s33, v58
	ds_read_b64 v[0:1], v95
	s_waitcnt lgkmcnt(0)
	ds_write_b64 v60, v[0:1]
	s_waitcnt lgkmcnt(0)
	s_barrier
	s_and_saveexec_b64 s[62:63], s[48:49]
	s_cbranch_execz .LBB1_57
; %bb.56:                               ;   in Loop: Header=BB1_55 Depth=2
	v_add_u32_e32 v100, v60, v59
	ds_read_b128 v[96:99], v100
	s_waitcnt lgkmcnt(0)
	v_lshl_add_u64 v[0:1], v[98:99], 0, v[96:97]
	ds_write_b64 v100, v[0:1] offset:8
.LBB1_57:                               ;   in Loop: Header=BB1_55 Depth=2
	s_or_b64 exec, exec, s[62:63]
	s_waitcnt lgkmcnt(0)
	s_barrier
	s_and_saveexec_b64 s[62:63], s[50:51]
	s_cbranch_execz .LBB1_59
; %bb.58:                               ;   in Loop: Header=BB1_55 Depth=2
	ds_read_b64 v[0:1], v62 offset:28696
	ds_read_b64 v[96:97], v61 offset:28696
	s_waitcnt lgkmcnt(0)
	v_lshl_add_u64 v[0:1], v[96:97], 0, v[0:1]
	ds_write_b64 v61, v[0:1] offset:28696
.LBB1_59:                               ;   in Loop: Header=BB1_55 Depth=2
	s_or_b64 exec, exec, s[62:63]
	s_waitcnt lgkmcnt(0)
	s_barrier
	s_and_saveexec_b64 s[62:63], s[52:53]
	s_cbranch_execz .LBB1_61
; %bb.60:                               ;   in Loop: Header=BB1_55 Depth=2
	ds_read_b64 v[0:1], v64 offset:28696
	ds_read_b64 v[96:97], v63 offset:28696
	s_waitcnt lgkmcnt(0)
	v_lshl_add_u64 v[0:1], v[96:97], 0, v[0:1]
	ds_write_b64 v63, v[0:1] offset:28696
.LBB1_61:                               ;   in Loop: Header=BB1_55 Depth=2
	s_or_b64 exec, exec, s[62:63]
	s_waitcnt lgkmcnt(0)
	s_barrier
	s_and_saveexec_b64 s[62:63], s[54:55]
	s_cbranch_execz .LBB1_63
; %bb.62:                               ;   in Loop: Header=BB1_55 Depth=2
	ds_read_b64 v[0:1], v66 offset:28696
	ds_read_b64 v[96:97], v65 offset:28696
	s_waitcnt lgkmcnt(0)
	v_lshl_add_u64 v[0:1], v[96:97], 0, v[0:1]
	ds_write_b64 v65, v[0:1] offset:28696
.LBB1_63:                               ;   in Loop: Header=BB1_55 Depth=2
	s_or_b64 exec, exec, s[62:63]
	s_waitcnt lgkmcnt(0)
	s_barrier
	s_and_saveexec_b64 s[62:63], s[56:57]
	s_cbranch_execz .LBB1_65
; %bb.64:                               ;   in Loop: Header=BB1_55 Depth=2
	ds_read_b64 v[0:1], v68 offset:28696
	ds_read_b64 v[96:97], v67 offset:28696
	s_waitcnt lgkmcnt(0)
	v_lshl_add_u64 v[0:1], v[96:97], 0, v[0:1]
	ds_write_b64 v67, v[0:1] offset:28696
.LBB1_65:                               ;   in Loop: Header=BB1_55 Depth=2
	s_or_b64 exec, exec, s[62:63]
	s_waitcnt lgkmcnt(0)
	s_barrier
	s_and_saveexec_b64 s[62:63], s[58:59]
	s_cbranch_execz .LBB1_67
; %bb.66:                               ;   in Loop: Header=BB1_55 Depth=2
	ds_read_b64 v[0:1], v70 offset:28696
	ds_read_b64 v[96:97], v69 offset:28696
	s_waitcnt lgkmcnt(0)
	v_lshl_add_u64 v[0:1], v[96:97], 0, v[0:1]
	ds_write_b64 v69, v[0:1] offset:28696
.LBB1_67:                               ;   in Loop: Header=BB1_55 Depth=2
	s_or_b64 exec, exec, s[62:63]
	s_waitcnt lgkmcnt(0)
	s_barrier
	s_and_saveexec_b64 s[62:63], s[60:61]
	s_cbranch_execz .LBB1_69
; %bb.68:                               ;   in Loop: Header=BB1_55 Depth=2
	v_add_u32_e64 v0, 24, 0
	ds_read2st64_b64 v[96:99], v0 offset0:57 offset1:58
	s_waitcnt lgkmcnt(0)
	v_lshl_add_u64 v[0:1], v[98:99], 0, v[96:97]
	ds_write_b64 v50, v[0:1] offset:29720
.LBB1_69:                               ;   in Loop: Header=BB1_55 Depth=2
	s_or_b64 exec, exec, s[62:63]
	s_waitcnt lgkmcnt(0)
	s_barrier
	s_barrier
	s_and_saveexec_b64 s[62:63], s[60:61]
	s_cbranch_execz .LBB1_71
; %bb.70:                               ;   in Loop: Header=BB1_55 Depth=2
	ds_read_b64 v[0:1], v50 offset:29720
	v_add_u32_e64 v100, 24, 0
	s_waitcnt lgkmcnt(0)
	ds_write_b64 v50, v[0:1] offset:29728
	s_waitcnt lgkmcnt(0)
	ds_write_b64 v50, v[50:51] offset:29720
	s_waitcnt lgkmcnt(0)
	ds_read2st64_b64 v[96:99], v100 offset0:57 offset1:58
	s_waitcnt lgkmcnt(0)
	v_lshl_add_u64 v[0:1], v[98:99], 0, v[96:97]
	ds_write2st64_b64 v100, v[98:99], v[0:1] offset0:57 offset1:58
.LBB1_71:                               ;   in Loop: Header=BB1_55 Depth=2
	s_or_b64 exec, exec, s[62:63]
	s_waitcnt lgkmcnt(0)
	s_barrier
	s_and_saveexec_b64 s[62:63], s[58:59]
	s_cbranch_execz .LBB1_73
; %bb.72:                               ;   in Loop: Header=BB1_55 Depth=2
	ds_read_b64 v[0:1], v69 offset:28696
	ds_read_b64 v[96:97], v70 offset:28696
	s_waitcnt lgkmcnt(1)
	ds_write_b64 v70, v[0:1] offset:28696
	s_waitcnt lgkmcnt(1)
	v_lshl_add_u64 v[0:1], v[0:1], 0, v[96:97]
	ds_write_b64 v69, v[0:1] offset:28696
.LBB1_73:                               ;   in Loop: Header=BB1_55 Depth=2
	s_or_b64 exec, exec, s[62:63]
	s_waitcnt lgkmcnt(0)
	s_barrier
	s_and_saveexec_b64 s[62:63], s[56:57]
	s_cbranch_execz .LBB1_75
; %bb.74:                               ;   in Loop: Header=BB1_55 Depth=2
	ds_read_b64 v[0:1], v67 offset:28696
	ds_read_b64 v[96:97], v68 offset:28696
	s_waitcnt lgkmcnt(1)
	ds_write_b64 v68, v[0:1] offset:28696
	s_waitcnt lgkmcnt(1)
	v_lshl_add_u64 v[0:1], v[0:1], 0, v[96:97]
	ds_write_b64 v67, v[0:1] offset:28696
.LBB1_75:                               ;   in Loop: Header=BB1_55 Depth=2
	;; [unrolled: 14-line block ×5, first 2 shown]
	s_or_b64 exec, exec, s[62:63]
	s_waitcnt lgkmcnt(0)
	s_barrier
	s_and_saveexec_b64 s[62:63], s[48:49]
	s_cbranch_execz .LBB1_83
; %bb.82:                               ;   in Loop: Header=BB1_55 Depth=2
	v_add_u32_e32 v0, v60, v59
	ds_read_b128 v[96:99], v0
	s_waitcnt lgkmcnt(0)
	v_lshl_add_u64 v[102:103], v[98:99], 0, v[96:97]
	v_mov_b32_e32 v100, v98
	v_mov_b32_e32 v101, v99
	ds_write_b128 v0, v[100:103]
.LBB1_83:                               ;   in Loop: Header=BB1_55 Depth=2
	s_or_b64 exec, exec, s[62:63]
	s_waitcnt lgkmcnt(0)
	s_barrier
	s_barrier
	ds_read_b64 v[0:1], v50 offset:29728
	s_waitcnt lgkmcnt(0)
	s_barrier
	ds_read_b64 v[96:97], v60
	s_waitcnt lgkmcnt(0)
	ds_write_b64 v95, v[96:97]
	s_and_saveexec_b64 s[62:63], s[60:61]
	s_cbranch_execz .LBB1_54
; %bb.84:                               ;   in Loop: Header=BB1_55 Depth=2
	v_mov_b32_e32 v95, s33
	ds_write_b64 v95, v[0:1] offset:28672
	s_branch .LBB1_54
.LBB1_85:                               ;   in Loop: Header=BB1_53 Depth=1
	s_waitcnt lgkmcnt(0)
	s_barrier
	s_and_saveexec_b64 s[62:63], s[54:55]
	s_cbranch_execz .LBB1_87
; %bb.86:                               ;   in Loop: Header=BB1_53 Depth=1
	scratch_load_dword v1, off, off offset:16 ; 4-byte Folded Reload
	s_waitcnt vmcnt(0)
	ds_read_b32 v0, v1 offset:4096
	s_waitcnt lgkmcnt(0)
	v_add_u16_sdwa v0, v0, v0 dst_sel:DWORD dst_unused:UNUSED_PAD src0_sel:WORD_1 src1_sel:DWORD
	ds_write_b16 v1, v0 offset:4098
.LBB1_87:                               ;   in Loop: Header=BB1_53 Depth=1
	s_or_b64 exec, exec, s[62:63]
	s_waitcnt lgkmcnt(0)
	s_barrier
	s_and_saveexec_b64 s[62:63], s[56:57]
	s_cbranch_execz .LBB1_89
; %bb.88:                               ;   in Loop: Header=BB1_53 Depth=1
	scratch_load_dword v0, off, off         ; 4-byte Folded Reload
	scratch_load_dword v95, off, off offset:4 ; 4-byte Folded Reload
	s_waitcnt vmcnt(1)
	ds_read_u16 v0, v0 offset:28670
	s_waitcnt vmcnt(0)
	ds_read_u16 v1, v95 offset:28670
	s_waitcnt lgkmcnt(0)
	v_add_u16_e32 v0, v1, v0
	ds_write_b16 v95, v0 offset:28670
.LBB1_89:                               ;   in Loop: Header=BB1_53 Depth=1
	s_or_b64 exec, exec, s[62:63]
	s_waitcnt lgkmcnt(0)
	s_barrier
	s_and_saveexec_b64 s[62:63], s[58:59]
	s_cbranch_execz .LBB1_91
; %bb.90:                               ;   in Loop: Header=BB1_53 Depth=1
	scratch_load_dword v0, off, off offset:8 ; 4-byte Folded Reload
	scratch_load_dword v95, off, off offset:12 ; 4-byte Folded Reload
	s_waitcnt vmcnt(1)
	ds_read_u16 v0, v0 offset:28670
	s_waitcnt vmcnt(0)
	ds_read_u16 v1, v95 offset:28670
	s_waitcnt lgkmcnt(0)
	v_add_u16_e32 v0, v1, v0
	ds_write_b16 v95, v0 offset:28670
.LBB1_91:                               ;   in Loop: Header=BB1_53 Depth=1
	s_or_b64 exec, exec, s[62:63]
	s_waitcnt lgkmcnt(0)
	s_barrier
	s_and_saveexec_b64 s[62:63], s[60:61]
	s_cbranch_execz .LBB1_93
; %bb.92:                               ;   in Loop: Header=BB1_53 Depth=1
	ds_read_u16 v0, v50 offset:28686
	ds_read_u16 v1, v50 offset:28702
	s_waitcnt lgkmcnt(0)
	v_add_u32_e32 v0, v1, v0
	ds_write_b16 v50, v0 offset:28702
.LBB1_93:                               ;   in Loop: Header=BB1_53 Depth=1
	s_or_b64 exec, exec, s[62:63]
	s_waitcnt lgkmcnt(0)
	s_barrier
	s_barrier
	s_and_saveexec_b64 s[62:63], s[60:61]
	s_cbranch_execz .LBB1_95
; %bb.94:                               ;   in Loop: Header=BB1_53 Depth=1
	ds_read_u16 v0, v50 offset:28702
	s_waitcnt lgkmcnt(0)
	ds_write_b16 v50, v0 offset:29736
	s_waitcnt lgkmcnt(0)
	ds_write_b16 v50, v50 offset:28702
	s_waitcnt lgkmcnt(0)
	ds_read_u16 v0, v50 offset:28702
	ds_read_u16 v1, v50 offset:28686
	s_waitcnt lgkmcnt(1)
	ds_write_b16 v50, v0 offset:28686
	s_waitcnt lgkmcnt(1)
	v_add_u32_e32 v0, v0, v1
	ds_write_b16 v50, v0 offset:28702
.LBB1_95:                               ;   in Loop: Header=BB1_53 Depth=1
	s_or_b64 exec, exec, s[62:63]
	s_waitcnt lgkmcnt(0)
	s_barrier
	s_and_saveexec_b64 s[62:63], s[58:59]
	s_cbranch_execz .LBB1_97
; %bb.96:                               ;   in Loop: Header=BB1_53 Depth=1
	scratch_load_dword v96, off, off offset:12 ; 4-byte Folded Reload
	scratch_load_dword v95, off, off offset:8 ; 4-byte Folded Reload
	s_waitcnt vmcnt(1)
	ds_read_u16 v0, v96 offset:28670
	s_waitcnt vmcnt(0)
	ds_read_u16 v1, v95 offset:28670
	s_waitcnt lgkmcnt(1)
	ds_write_b16 v95, v0 offset:28670
	s_waitcnt lgkmcnt(1)
	v_add_u16_e32 v0, v0, v1
	ds_write_b16 v96, v0 offset:28670
.LBB1_97:                               ;   in Loop: Header=BB1_53 Depth=1
	s_or_b64 exec, exec, s[62:63]
	s_waitcnt lgkmcnt(0)
	s_barrier
	s_and_saveexec_b64 s[62:63], s[56:57]
	s_cbranch_execz .LBB1_99
; %bb.98:                               ;   in Loop: Header=BB1_53 Depth=1
	scratch_load_dword v96, off, off offset:4 ; 4-byte Folded Reload
	scratch_load_dword v95, off, off        ; 4-byte Folded Reload
	s_waitcnt vmcnt(1)
	ds_read_u16 v0, v96 offset:28670
	s_waitcnt vmcnt(0)
	ds_read_u16 v1, v95 offset:28670
	s_waitcnt lgkmcnt(1)
	ds_write_b16 v95, v0 offset:28670
	s_waitcnt lgkmcnt(1)
	v_add_u16_e32 v0, v0, v1
	ds_write_b16 v96, v0 offset:28670
.LBB1_99:                               ;   in Loop: Header=BB1_53 Depth=1
	s_or_b64 exec, exec, s[62:63]
	s_waitcnt lgkmcnt(0)
	s_barrier
	s_and_saveexec_b64 s[62:63], s[54:55]
	s_cbranch_execz .LBB1_101
; %bb.100:                              ;   in Loop: Header=BB1_53 Depth=1
	scratch_load_dword v95, off, off offset:16 ; 4-byte Folded Reload
	s_waitcnt vmcnt(0)
	ds_read_b32 v0, v95 offset:4096
	s_waitcnt lgkmcnt(0)
	v_add_u16_sdwa v1, v0, v0 dst_sel:DWORD dst_unused:UNUSED_PAD src0_sel:WORD_1 src1_sel:DWORD
	v_alignbit_b32 v0, v1, v0, 16
	ds_write_b32 v95, v0 offset:4096
.LBB1_101:                              ;   in Loop: Header=BB1_53 Depth=1
	s_or_b64 exec, exec, s[62:63]
	v_lshl_or_b32 v0, v93, 3, v94
	s_waitcnt lgkmcnt(0)
	s_barrier
	s_barrier
	;; [unrolled: 1-line block ×3, first 2 shown]
	ds_read_u16 v0, v0 offset:28672
	ds_read_u16 v1, v84
	v_lshl_or_b32 v90, v90, 3, v91
	v_lshl_or_b32 v87, v125, 3, v87
	;; [unrolled: 1-line block ×4, first 2 shown]
	s_waitcnt lgkmcnt(0)
	v_add_u16_e32 v93, 1, v1
	ds_write_b16 v84, v93
	v_lshl_or_b32 v84, v89, 3, v92
	ds_read_u16 v84, v84 offset:28672
	ds_read_u16 v89, v124
	v_and_b32_e32 v1, 0xffff, v1
	v_add_lshl_u32 v0, v1, v0, 2
	v_lshl_or_b32 v96, v114, 3, v117
	v_lshl_or_b32 v97, v120, 3, v122
	s_waitcnt lgkmcnt(0)
	v_add_u16_e32 v92, 1, v89
	ds_write_b16 v124, v92
	ds_read_u16 v90, v90 offset:28672
	ds_read_u16 v91, v123
	s_mov_b32 s62, 0
	s_mov_b32 s63, s62
	;; [unrolled: 1-line block ×4, first 2 shown]
	s_waitcnt lgkmcnt(0)
	v_add_u16_e32 v92, 1, v91
	ds_write_b16 v123, v92
	ds_read_u16 v87, v87 offset:28672
	ds_read_u16 v92, v118
	s_add_i32 s33, s69, 4
	s_waitcnt lgkmcnt(0)
	v_add_u16_e32 v93, 1, v92
	ds_write_b16 v118, v93
	ds_read_u16 v83, v83 offset:28672
	ds_read_u16 v93, v119
	ds_write2st64_b32 v0, v2, v10 offset1:48
	v_and_b32_e32 v0, 0xffff, v89
	v_add_lshl_u32 v0, v0, v84, 2
	s_waitcnt lgkmcnt(1)
	v_add_u16_e32 v94, 1, v93
	ds_write_b16 v119, v94
	ds_read_u16 v95, v54
	v_lshl_or_b32 v94, v113, 3, v116
	ds_read_u16 v94, v94 offset:28672
	s_waitcnt lgkmcnt(1)
	v_add_u16_e32 v98, 1, v95
	ds_write_b16 v54, v98
	ds_read_u16 v54, v52
	ds_read_u16 v1, v79 offset:28672
	v_lshl_or_b32 v98, v115, 3, v121
	s_waitcnt lgkmcnt(1)
	v_add_u16_e32 v79, 1, v54
	ds_write_b16 v52, v79
	ds_read_u16 v52, v53
	ds_read_u16 v2, v96 offset:28672
	s_waitcnt lgkmcnt(1)
	v_add_u16_e32 v10, 1, v52
	ds_write_b16 v53, v10
	ds_read_u16 v10, v97 offset:28672
	ds_read_u16 v53, v55
	ds_write2st64_b32 v0, v3, v11 offset1:48
	v_and_b32_e32 v0, 0xffff, v91
	v_add_lshl_u32 v0, v0, v90, 2
	ds_write2st64_b32 v0, v4, v12 offset1:48
	s_waitcnt lgkmcnt(2)
	v_add_u16_e32 v0, 1, v53
	ds_write_b16 v55, v0
	ds_read_u16 v0, v98 offset:28672
	ds_read_u16 v3, v75
	v_and_b32_e32 v4, 0xffff, v92
	v_add_lshl_u32 v4, v4, v87, 2
	ds_write2st64_b32 v4, v5, v13 offset1:48
	v_and_b32_e32 v4, 0xffff, v93
	s_waitcnt lgkmcnt(1)
	v_add_u16_e32 v5, 1, v3
	ds_write_b16 v75, v5
	scratch_load_dword v5, off, off offset:76 ; 4-byte Folded Reload
	v_add_lshl_u32 v4, v4, v83, 2
	s_waitcnt vmcnt(0)
	v_lshl_or_b32 v5, v5, 3, v109
	ds_read_u16 v5, v5 offset:28672
	ds_read_u16 v11, v80
	ds_write2st64_b32 v4, v6, v18 offset1:48
	v_and_b32_e32 v4, 0xffff, v95
	v_add_lshl_u32 v4, v4, v94, 2
	s_waitcnt lgkmcnt(1)
	v_add_u16_e32 v6, 1, v11
	ds_write_b16 v80, v6
	scratch_load_dword v6, off, off offset:24 ; 4-byte Folded Reload
	scratch_load_dword v12, off, off offset:80 ; 4-byte Folded Reload
	s_waitcnt vmcnt(0)
	v_lshl_or_b32 v6, v6, 3, v12
	ds_read_u16 v6, v6 offset:28672
	ds_read_u16 v12, v72
	ds_write2st64_b32 v4, v7, v19 offset1:48
	v_and_b32_e32 v4, 0xffff, v54
	v_add_lshl_u32 v1, v4, v1, 2
	ds_write2st64_b32 v1, v8, v20 offset1:48
	s_waitcnt lgkmcnt(2)
	v_add_u16_e32 v1, 1, v12
	ds_write_b16 v72, v1
	scratch_load_dword v1, off, off offset:56 ; 4-byte Folded Reload
	v_and_b32_e32 v7, 0xffff, v52
	v_add_lshl_u32 v2, v7, v2, 2
	s_waitcnt vmcnt(0)
	v_lshl_or_b32 v1, v1, 3, v105
	ds_read_u16 v1, v1 offset:28672
	ds_read_u16 v4, v76
	ds_write2st64_b32 v2, v9, v21 offset1:48
	v_and_b32_e32 v2, 0xffff, v53
	v_add_lshl_u32 v2, v2, v10, 2
	v_and_b32_e32 v9, 0xffff, v12
	s_waitcnt lgkmcnt(1)
	v_add_u16_e32 v7, 1, v4
	ds_write_b16 v76, v7
	scratch_load_dword v7, off, off offset:20 ; 4-byte Folded Reload
	scratch_load_dword v8, off, off offset:60 ; 4-byte Folded Reload
	v_add_lshl_u32 v6, v9, v6, 2
	v_and_b32_e32 v4, 0xffff, v4
	v_add_lshl_u32 v1, v4, v1, 2
	s_waitcnt vmcnt(0)
	v_lshl_or_b32 v7, v7, 3, v8
	ds_read_u16 v7, v7 offset:28672
	ds_read_u16 v8, v57
	ds_write2st64_b32 v2, v14, v26 offset1:48
	v_and_b32_e32 v2, 0xffff, v3
	v_add_lshl_u32 v0, v2, v0, 2
	s_waitcnt lgkmcnt(1)
	v_add_u16_e32 v2, 1, v8
	ds_write_b16 v57, v2
	scratch_load_dword v2, off, off offset:40 ; 4-byte Folded Reload
	scratch_load_dword v3, off, off offset:84 ; 4-byte Folded Reload
	s_waitcnt vmcnt(0)
	v_lshl_or_b32 v2, v2, 3, v3
	ds_read_u16 v2, v2 offset:28672
	ds_read_u16 v3, v73
	ds_write2st64_b32 v0, v15, v27 offset1:48
	v_and_b32_e32 v0, 0xffff, v11
	v_add_lshl_u32 v0, v0, v5, 2
	ds_write2st64_b32 v0, v16, v28 offset1:48
	s_waitcnt lgkmcnt(2)
	v_add_u16_e32 v0, 1, v3
	ds_write_b16 v73, v0
	scratch_load_dword v0, off, off offset:28 ; 4-byte Folded Reload
	scratch_load_dword v5, off, off offset:44 ; 4-byte Folded Reload
	s_waitcnt vmcnt(0)
	v_lshl_or_b32 v0, v0, 3, v5
	ds_read_u16 v0, v0 offset:28672
	ds_read_u16 v5, v71
	ds_write2st64_b32 v6, v17, v29 offset1:48
	s_waitcnt lgkmcnt(1)
	v_add_u16_e32 v6, 1, v5
	ds_write_b16 v71, v6
	scratch_load_dword v6, off, off offset:48 ; 4-byte Folded Reload
	scratch_load_dword v9, off, off offset:88 ; 4-byte Folded Reload
	s_waitcnt vmcnt(0)
	v_lshl_or_b32 v6, v6, 3, v9
	ds_read_u16 v6, v6 offset:28672
	ds_read_u16 v9, v77
	ds_write2st64_b32 v1, v22, v30 offset1:48
	v_and_b32_e32 v1, 0xffff, v8
	v_add_lshl_u32 v1, v1, v7, 2
	s_waitcnt lgkmcnt(1)
	v_add_u16_e32 v4, 1, v9
	ds_write_b16 v77, v4
	scratch_load_dword v4, off, off offset:32 ; 4-byte Folded Reload
	scratch_load_dword v7, off, off offset:64 ; 4-byte Folded Reload
	s_waitcnt vmcnt(0)
	v_lshl_or_b32 v4, v4, 3, v7
	ds_read_u16 v4, v4 offset:28672
	ds_read_u16 v7, v74
	ds_write2st64_b32 v1, v23, v31 offset1:48
	v_and_b32_e32 v1, 0xffff, v3
	v_add_lshl_u32 v1, v1, v2, 2
	ds_write2st64_b32 v1, v24, v32 offset1:48
	s_waitcnt lgkmcnt(2)
	v_add_u16_e32 v1, 1, v7
	ds_write_b16 v74, v1
	scratch_load_dword v1, off, off offset:68 ; 4-byte Folded Reload
	v_and_b32_e32 v3, 0xffff, v5
	v_add_lshl_u32 v0, v3, v0, 2
	s_waitcnt vmcnt(0)
	v_lshl_or_b32 v1, v1, 3, v106
	ds_read_u16 v1, v1 offset:28672
	ds_read_u16 v2, v81
	ds_write2st64_b32 v0, v25, v33 offset1:48
	v_and_b32_e32 v0, 0xffff, v9
	v_add_lshl_u32 v0, v0, v6, 2
	s_waitcnt lgkmcnt(1)
	v_add_u16_e32 v3, 1, v2
	ds_write_b16 v81, v3
	scratch_load_dword v3, off, off offset:36 ; 4-byte Folded Reload
	scratch_load_dword v5, off, off offset:92 ; 4-byte Folded Reload
	s_waitcnt vmcnt(0)
	v_lshl_or_b32 v3, v3, 3, v5
	ds_read_u16 v3, v3 offset:28672
	ds_read_u16 v5, v78
	ds_write2st64_b32 v0, v34, v38 offset1:48
	v_and_b32_e32 v0, 0xffff, v7
	v_add_lshl_u32 v0, v0, v4, 2
	s_waitcnt lgkmcnt(1)
	v_add_u16_e32 v4, 1, v5
	ds_write_b16 v78, v4
	v_lshl_or_b32 v4, v104, 3, v110
	ds_read_u16 v4, v4 offset:28672
	ds_read_u16 v6, v85
	ds_write2st64_b32 v0, v35, v39 offset1:48
	v_and_b32_e32 v0, 0xffff, v2
	v_add_lshl_u32 v0, v0, v1, 2
	ds_write2st64_b32 v0, v36, v40 offset1:48
	s_waitcnt lgkmcnt(2)
	v_add_u16_e32 v0, 1, v6
	ds_write_b16 v85, v0
	scratch_load_dword v0, off, off offset:52 ; 4-byte Folded Reload
	v_and_b32_e32 v2, 0xffff, v5
	v_add_lshl_u32 v2, v2, v3, 2
	s_waitcnt vmcnt(0)
	v_lshl_or_b32 v0, v0, 3, v107
	ds_read_u16 v0, v0 offset:28672
	ds_read_u16 v1, v82
	ds_write2st64_b32 v2, v37, v41 offset1:48
	v_and_b32_e32 v2, 0xffff, v6
	v_add_lshl_u32 v2, v2, v4, 2
	v_mov_b64_e32 v[6:7], s[72:73]
	s_waitcnt lgkmcnt(1)
	v_add_u16_e32 v3, 1, v1
	ds_write_b16 v82, v3
	v_lshl_or_b32 v3, v108, 3, v112
	ds_read_u16 v3, v3 offset:28672
	ds_read_u16 v5, v88
	v_and_b32_e32 v1, 0xffff, v1
	v_add_lshl_u32 v0, v1, v0, 2
	ds_write2st64_b32 v2, v42, v46 offset1:48
	s_waitcnt lgkmcnt(1)
	v_add_u16_e32 v1, 1, v5
	ds_write_b16 v88, v1
	scratch_load_dword v1, off, off offset:72 ; 4-byte Folded Reload
	s_waitcnt vmcnt(0)
	v_lshl_or_b32 v1, v1, 3, v111
	ds_read_u16 v1, v1 offset:28672
	ds_read_u16 v2, v86
	ds_write2st64_b32 v0, v43, v47 offset1:48
	v_and_b32_e32 v0, 0xffff, v5
	v_add_lshl_u32 v0, v0, v3, 2
	ds_write2st64_b32 v0, v44, v48 offset1:48
	s_waitcnt lgkmcnt(2)
	v_add_u16_e32 v0, 1, v2
	ds_write_b16 v86, v0
	v_and_b32_e32 v0, 0xffff, v2
	v_add_lshl_u32 v0, v0, v1, 2
	ds_write2st64_b32 v0, v45, v49 offset1:48
	s_waitcnt lgkmcnt(0)
	s_barrier
	ds_read_b128 v[0:3], v56
	v_mov_b64_e32 v[4:5], s[62:63]
	ds_write2_b64 v58, v[4:5], v[6:7] offset1:1
	ds_write2_b64 v58, v[4:5], v[6:7] offset0:2 offset1:3
	s_waitcnt lgkmcnt(2)
	v_ashrrev_i32_e32 v4, s33, v0
	v_and_b32_e32 v5, 3, v4
	v_lshrrev_b32_e32 v4, 2, v4
	v_and_b32_e32 v4, 3, v4
	scratch_store_dword off, v4, off offset:68 ; 4-byte Folded Spill
	v_lshlrev_b32_e32 v4, 3, v4
	v_lshlrev_b32_e32 v5, 1, v5
	v_add3_u32 v87, v58, v4, v5
	ds_read_u16 v4, v87
	scratch_store_dword off, v5, off offset:72 ; 4-byte Folded Spill
	v_ashrrev_i32_e32 v5, s33, v1
	v_lshrrev_b32_e32 v6, 2, v5
	v_and_b32_e32 v6, 3, v6
	s_waitcnt lgkmcnt(0)
	v_add_u16_e32 v4, 1, v4
	ds_write_b16 v87, v4
	v_and_b32_e32 v4, 3, v5
	v_lshlrev_b32_e32 v5, 3, v6
	v_lshlrev_b32_e32 v4, 1, v4
	v_add3_u32 v81, v58, v5, v4
	scratch_store_dword off, v4, off offset:48 ; 4-byte Folded Spill
	ds_read_u16 v4, v81
	scratch_store_dword off, v6, off offset:44 ; 4-byte Folded Spill
	s_waitcnt lgkmcnt(0)
	v_add_u16_e32 v4, 1, v4
	ds_write_b16 v81, v4
	v_ashrrev_i32_e32 v4, s33, v2
	v_and_b32_e32 v5, 3, v4
	v_lshrrev_b32_e32 v4, 2, v4
	v_and_b32_e32 v4, 3, v4
	scratch_store_dword off, v4, off offset:28 ; 4-byte Folded Spill
	v_lshlrev_b32_e32 v4, 3, v4
	v_lshlrev_b32_e32 v5, 1, v5
	v_add3_u32 v77, v58, v4, v5
	ds_read_u16 v4, v77
	scratch_store_dword off, v5, off offset:36 ; 4-byte Folded Spill
	v_ashrrev_i32_e32 v5, s33, v3
	v_lshrrev_b32_e32 v6, 2, v5
	v_and_b32_e32 v6, 3, v6
	s_waitcnt lgkmcnt(0)
	v_add_u16_e32 v4, 1, v4
	ds_write_b16 v77, v4
	v_and_b32_e32 v4, 3, v5
	v_lshlrev_b32_e32 v5, 3, v6
	v_lshlrev_b32_e32 v4, 1, v4
	scratch_store_dword off, v6, off offset:20 ; 4-byte Folded Spill
	scratch_store_dword off, v4, off offset:24 ; 4-byte Folded Spill
	v_add3_u32 v76, v58, v5, v4
	ds_read_u16 v4, v76
	ds_read_b128 v[20:23], v56 offset:16
	s_waitcnt lgkmcnt(1)
	v_add_u16_e32 v4, 1, v4
	ds_write_b16 v76, v4
	s_waitcnt lgkmcnt(1)
	v_ashrrev_i32_e32 v4, s33, v20
	v_and_b32_e32 v5, 3, v4
	v_lshrrev_b32_e32 v4, 2, v4
	v_and_b32_e32 v53, 3, v4
	v_lshlrev_b32_e32 v4, 3, v53
	v_lshlrev_b32_e32 v54, 1, v5
	v_add3_u32 v124, v58, v4, v54
	ds_read_u16 v4, v124
	v_ashrrev_i32_e32 v5, s33, v21
	v_lshrrev_b32_e32 v6, 2, v5
	v_and_b32_e32 v125, 3, v6
	s_waitcnt lgkmcnt(0)
	v_add_u16_e32 v4, 1, v4
	ds_write_b16 v124, v4
	v_and_b32_e32 v4, 3, v5
	v_lshlrev_b32_e32 v5, 3, v125
	v_lshlrev_b32_e32 v126, 1, v4
	v_add3_u32 v118, v58, v5, v126
	ds_read_u16 v4, v118
	s_waitcnt lgkmcnt(0)
	v_add_u16_e32 v4, 1, v4
	ds_write_b16 v118, v4
	v_ashrrev_i32_e32 v4, s33, v22
	v_and_b32_e32 v5, 3, v4
	v_lshrrev_b32_e32 v4, 2, v4
	v_and_b32_e32 v105, 3, v4
	v_lshlrev_b32_e32 v4, 3, v105
	v_lshlrev_b32_e32 v116, 1, v5
	v_add3_u32 v106, v58, v4, v116
	ds_read_u16 v4, v106
	v_ashrrev_i32_e32 v5, s33, v23
	v_lshrrev_b32_e32 v6, 2, v5
	v_and_b32_e32 v6, 3, v6
	scratch_store_dword off, v6, off offset:76 ; 4-byte Folded Spill
	s_waitcnt lgkmcnt(0)
	v_add_u16_e32 v4, 1, v4
	ds_write_b16 v106, v4
	v_and_b32_e32 v4, 3, v5
	v_lshlrev_b32_e32 v5, 3, v6
	v_lshlrev_b32_e32 v4, 1, v4
	scratch_store_dword off, v4, off offset:84 ; 4-byte Folded Spill
	v_add3_u32 v102, v58, v5, v4
	ds_read_u16 v4, v102
	ds_read_b128 v[16:19], v56 offset:32
	s_waitcnt lgkmcnt(1)
	v_add_u16_e32 v4, 1, v4
	ds_write_b16 v102, v4
	s_waitcnt lgkmcnt(1)
	v_ashrrev_i32_e32 v4, s33, v16
	v_and_b32_e32 v5, 3, v4
	v_lshrrev_b32_e32 v4, 2, v4
	v_and_b32_e32 v83, 3, v4
	v_lshlrev_b32_e32 v4, 3, v83
	v_lshlrev_b32_e32 v84, 1, v5
	v_add3_u32 v82, v58, v4, v84
	ds_read_u16 v4, v82
	v_ashrrev_i32_e32 v5, s33, v17
	v_lshrrev_b32_e32 v6, 2, v5
	v_and_b32_e32 v74, 3, v6
	s_waitcnt lgkmcnt(0)
	v_add_u16_e32 v4, 1, v4
	ds_write_b16 v82, v4
	v_and_b32_e32 v4, 3, v5
	v_lshlrev_b32_e32 v5, 3, v74
	v_lshlrev_b32_e32 v75, 1, v4
	v_add3_u32 v121, v58, v5, v75
	ds_read_u16 v4, v121
	s_waitcnt lgkmcnt(0)
	v_add_u16_e32 v4, 1, v4
	ds_write_b16 v121, v4
	v_ashrrev_i32_e32 v4, s33, v18
	v_and_b32_e32 v5, 3, v4
	v_lshrrev_b32_e32 v4, 2, v4
	v_and_b32_e32 v122, 3, v4
	v_lshlrev_b32_e32 v4, 3, v122
	v_lshlrev_b32_e32 v123, 1, v5
	v_add3_u32 v111, v58, v4, v123
	ds_read_u16 v4, v111
	v_ashrrev_i32_e32 v5, s33, v19
	v_lshrrev_b32_e32 v6, 2, v5
	v_and_b32_e32 v110, 3, v6
	s_waitcnt lgkmcnt(0)
	v_add_u16_e32 v4, 1, v4
	ds_write_b16 v111, v4
	v_and_b32_e32 v4, 3, v5
	v_lshlrev_b32_e32 v5, 3, v110
	v_lshlrev_b32_e32 v100, 1, v4
	v_add3_u32 v101, v58, v5, v100
	ds_read_u16 v4, v101
	ds_read_b128 v[12:15], v56 offset:48
	s_waitcnt lgkmcnt(1)
	v_add_u16_e32 v4, 1, v4
	ds_write_b16 v101, v4
	s_waitcnt lgkmcnt(1)
	v_ashrrev_i32_e32 v4, s33, v12
	v_and_b32_e32 v5, 3, v4
	v_lshrrev_b32_e32 v4, 2, v4
	v_and_b32_e32 v127, 3, v4
	v_lshlrev_b32_e32 v4, 3, v127
	v_lshlrev_b32_e32 v52, 1, v5
	v_add3_u32 v119, v58, v4, v52
	ds_read_u16 v4, v119
	v_ashrrev_i32_e32 v5, s33, v13
	v_lshrrev_b32_e32 v6, 2, v5
	v_and_b32_e32 v117, 3, v6
	s_waitcnt lgkmcnt(0)
	v_add_u16_e32 v4, 1, v4
	ds_write_b16 v119, v4
	v_and_b32_e32 v4, 3, v5
	v_lshlrev_b32_e32 v5, 3, v117
	v_lshlrev_b32_e32 v120, 1, v4
	v_add3_u32 v107, v58, v5, v120
	ds_read_u16 v4, v107
	s_waitcnt lgkmcnt(0)
	v_add_u16_e32 v4, 1, v4
	ds_write_b16 v107, v4
	v_ashrrev_i32_e32 v4, s33, v14
	v_and_b32_e32 v5, 3, v4
	v_lshrrev_b32_e32 v4, 2, v4
	v_and_b32_e32 v4, 3, v4
	scratch_store_dword off, v4, off offset:92 ; 4-byte Folded Spill
	v_lshlrev_b32_e32 v4, 3, v4
	v_lshlrev_b32_e32 v109, 1, v5
	v_add3_u32 v95, v58, v4, v109
	ds_read_u16 v4, v95
	v_ashrrev_i32_e32 v5, s33, v15
	v_lshrrev_b32_e32 v6, 2, v5
	v_and_b32_e32 v6, 3, v6
	scratch_store_dword off, v6, off offset:60 ; 4-byte Folded Spill
	s_waitcnt lgkmcnt(0)
	v_add_u16_e32 v4, 1, v4
	ds_write_b16 v95, v4
	v_and_b32_e32 v4, 3, v5
	v_lshlrev_b32_e32 v5, 3, v6
	v_lshlrev_b32_e32 v4, 1, v4
	scratch_store_dword off, v4, off offset:64 ; 4-byte Folded Spill
	v_add3_u32 v89, v58, v5, v4
	ds_read_u16 v4, v89
	ds_read_b128 v[8:11], v56 offset:64
	s_waitcnt lgkmcnt(1)
	v_add_u16_e32 v4, 1, v4
	ds_write_b16 v89, v4
	s_waitcnt lgkmcnt(1)
	v_ashrrev_i32_e32 v4, s33, v8
	v_and_b32_e32 v5, 3, v4
	v_lshrrev_b32_e32 v4, 2, v4
	v_and_b32_e32 v104, 3, v4
	v_lshlrev_b32_e32 v4, 3, v104
	v_lshlrev_b32_e32 v108, 1, v5
	v_add3_u32 v103, v58, v4, v108
	ds_read_u16 v4, v103
	v_ashrrev_i32_e32 v5, s33, v9
	v_lshrrev_b32_e32 v6, 2, v5
	v_and_b32_e32 v6, 3, v6
	scratch_store_dword off, v6, off offset:80 ; 4-byte Folded Spill
	s_waitcnt lgkmcnt(0)
	v_add_u16_e32 v4, 1, v4
	ds_write_b16 v103, v4
	v_and_b32_e32 v4, 3, v5
	v_lshlrev_b32_e32 v5, 3, v6
	v_lshlrev_b32_e32 v4, 1, v4
	v_add3_u32 v91, v58, v5, v4
	scratch_store_dword off, v4, off offset:88 ; 4-byte Folded Spill
	ds_read_u16 v4, v91
	s_waitcnt lgkmcnt(0)
	v_add_u16_e32 v4, 1, v4
	ds_write_b16 v91, v4
	v_ashrrev_i32_e32 v4, s33, v10
	v_and_b32_e32 v5, 3, v4
	v_lshrrev_b32_e32 v4, 2, v4
	v_and_b32_e32 v4, 3, v4
	scratch_store_dword off, v4, off offset:52 ; 4-byte Folded Spill
	v_lshlrev_b32_e32 v4, 3, v4
	v_lshlrev_b32_e32 v5, 1, v5
	v_add3_u32 v85, v58, v4, v5
	ds_read_u16 v4, v85
	scratch_store_dword off, v5, off offset:56 ; 4-byte Folded Spill
	v_ashrrev_i32_e32 v5, s33, v11
	v_lshrrev_b32_e32 v6, 2, v5
	v_and_b32_e32 v6, 3, v6
	s_waitcnt lgkmcnt(0)
	v_add_u16_e32 v4, 1, v4
	ds_write_b16 v85, v4
	v_and_b32_e32 v4, 3, v5
	v_lshlrev_b32_e32 v5, 3, v6
	v_lshlrev_b32_e32 v4, 1, v4
	scratch_store_dword off, v6, off offset:32 ; 4-byte Folded Spill
	scratch_store_dword off, v4, off offset:40 ; 4-byte Folded Spill
	v_add3_u32 v80, v58, v5, v4
	ds_read_u16 v24, v80
	ds_read_b128 v[4:7], v56 offset:80
	s_waitcnt lgkmcnt(1)
	v_add_u16_e32 v24, 1, v24
	ds_write_b16 v80, v24
	s_waitcnt lgkmcnt(1)
	v_ashrrev_i32_e32 v24, s33, v4
	v_and_b32_e32 v25, 3, v24
	v_lshrrev_b32_e32 v24, 2, v24
	v_and_b32_e32 v92, 3, v24
	v_lshlrev_b32_e32 v24, 3, v92
	v_lshlrev_b32_e32 v93, 1, v25
	v_add3_u32 v88, v58, v24, v93
	ds_read_u16 v24, v88
	v_ashrrev_i32_e32 v25, s33, v5
	v_lshrrev_b32_e32 v26, 2, v25
	v_and_b32_e32 v86, 3, v26
	s_waitcnt lgkmcnt(0)
	v_add_u16_e32 v24, 1, v24
	ds_write_b16 v88, v24
	v_and_b32_e32 v24, 3, v25
	v_lshlrev_b32_e32 v25, 3, v86
	v_lshlrev_b32_e32 v90, 1, v24
	v_add3_u32 v57, v58, v25, v90
	ds_read_u16 v24, v57
	s_waitcnt lgkmcnt(0)
	v_add_u16_e32 v24, 1, v24
	ds_write_b16 v57, v24
	v_ashrrev_i32_e32 v24, s33, v6
	v_and_b32_e32 v25, 3, v24
	v_lshrrev_b32_e32 v24, 2, v24
	v_and_b32_e32 v78, 3, v24
	v_lshlrev_b32_e32 v24, 3, v78
	v_lshlrev_b32_e32 v79, 1, v25
	v_add3_u32 v73, v58, v24, v79
	ds_read_u16 v24, v73
	v_ashrrev_i32_e32 v25, s33, v7
	v_lshrrev_b32_e32 v26, 2, v25
	v_and_b32_e32 v71, 3, v26
	s_waitcnt lgkmcnt(0)
	v_add_u16_e32 v24, 1, v24
	ds_write_b16 v73, v24
	v_and_b32_e32 v24, 3, v25
	v_lshlrev_b32_e32 v25, 3, v71
	v_lshlrev_b32_e32 v72, 1, v24
	v_add3_u32 v55, v58, v25, v72
	ds_read_u16 v24, v55
	v_add_u32_e32 v25, 0x3000, v56
	ds_read_b128 v[44:47], v25
	ds_read_b128 v[40:43], v25 offset:16
	ds_read_b128 v[36:39], v25 offset:32
	;; [unrolled: 1-line block ×3, first 2 shown]
	s_waitcnt lgkmcnt(4)
	v_add_u16_e32 v24, 1, v24
	ds_write_b16 v55, v24
	ds_read_b128 v[28:31], v25 offset:64
	ds_read_b128 v[24:27], v25 offset:80
	s_waitcnt lgkmcnt(0)
	s_barrier
	s_branch .LBB1_103
.LBB1_102:                              ;   in Loop: Header=BB1_103 Depth=2
	s_or_b64 exec, exec, s[72:73]
	s_add_i32 s62, s62, 8
	s_cmp_eq_u32 s62, 32
	s_cbranch_scc1 .LBB1_133
.LBB1_103:                              ;   Parent Loop BB1_53 Depth=1
                                        ; =>  This Inner Loop Header: Depth=2
	v_add_u32_e32 v94, s62, v58
	ds_read_b64 v[48:49], v94
	s_waitcnt lgkmcnt(0)
	ds_write_b64 v60, v[48:49]
	s_waitcnt lgkmcnt(0)
	s_barrier
	s_and_saveexec_b64 s[72:73], s[48:49]
	s_cbranch_execz .LBB1_105
; %bb.104:                              ;   in Loop: Header=BB1_103 Depth=2
	v_add_u32_e32 v112, v60, v59
	ds_read_b128 v[96:99], v112
	s_waitcnt lgkmcnt(0)
	v_lshl_add_u64 v[48:49], v[98:99], 0, v[96:97]
	ds_write_b64 v112, v[48:49] offset:8
.LBB1_105:                              ;   in Loop: Header=BB1_103 Depth=2
	s_or_b64 exec, exec, s[72:73]
	s_waitcnt lgkmcnt(0)
	s_barrier
	s_and_saveexec_b64 s[72:73], s[50:51]
	s_cbranch_execz .LBB1_107
; %bb.106:                              ;   in Loop: Header=BB1_103 Depth=2
	ds_read_b64 v[48:49], v62 offset:28696
	ds_read_b64 v[96:97], v61 offset:28696
	s_waitcnt lgkmcnt(0)
	v_lshl_add_u64 v[48:49], v[96:97], 0, v[48:49]
	ds_write_b64 v61, v[48:49] offset:28696
.LBB1_107:                              ;   in Loop: Header=BB1_103 Depth=2
	s_or_b64 exec, exec, s[72:73]
	s_waitcnt lgkmcnt(0)
	s_barrier
	s_and_saveexec_b64 s[72:73], s[52:53]
	s_cbranch_execz .LBB1_109
; %bb.108:                              ;   in Loop: Header=BB1_103 Depth=2
	ds_read_b64 v[48:49], v64 offset:28696
	ds_read_b64 v[96:97], v63 offset:28696
	s_waitcnt lgkmcnt(0)
	v_lshl_add_u64 v[48:49], v[96:97], 0, v[48:49]
	ds_write_b64 v63, v[48:49] offset:28696
.LBB1_109:                              ;   in Loop: Header=BB1_103 Depth=2
	;; [unrolled: 12-line block ×5, first 2 shown]
	s_or_b64 exec, exec, s[72:73]
	s_waitcnt lgkmcnt(0)
	s_barrier
	s_and_saveexec_b64 s[72:73], s[60:61]
	s_cbranch_execz .LBB1_117
; %bb.116:                              ;   in Loop: Header=BB1_103 Depth=2
	v_add_u32_e64 v48, 24, 0
	ds_read2st64_b64 v[96:99], v48 offset0:57 offset1:58
	s_waitcnt lgkmcnt(0)
	v_lshl_add_u64 v[48:49], v[98:99], 0, v[96:97]
	ds_write_b64 v50, v[48:49] offset:29720
.LBB1_117:                              ;   in Loop: Header=BB1_103 Depth=2
	s_or_b64 exec, exec, s[72:73]
	s_waitcnt lgkmcnt(0)
	s_barrier
	s_barrier
	s_and_saveexec_b64 s[72:73], s[60:61]
	s_cbranch_execz .LBB1_119
; %bb.118:                              ;   in Loop: Header=BB1_103 Depth=2
	ds_read_b64 v[48:49], v50 offset:29720
	v_add_u32_e64 v112, 24, 0
	s_waitcnt lgkmcnt(0)
	ds_write_b64 v50, v[48:49] offset:29728
	s_waitcnt lgkmcnt(0)
	ds_write_b64 v50, v[50:51] offset:29720
	s_waitcnt lgkmcnt(0)
	ds_read2st64_b64 v[96:99], v112 offset0:57 offset1:58
	s_waitcnt lgkmcnt(0)
	v_lshl_add_u64 v[48:49], v[98:99], 0, v[96:97]
	ds_write2st64_b64 v112, v[98:99], v[48:49] offset0:57 offset1:58
.LBB1_119:                              ;   in Loop: Header=BB1_103 Depth=2
	s_or_b64 exec, exec, s[72:73]
	s_waitcnt lgkmcnt(0)
	s_barrier
	s_and_saveexec_b64 s[72:73], s[58:59]
	s_cbranch_execz .LBB1_121
; %bb.120:                              ;   in Loop: Header=BB1_103 Depth=2
	ds_read_b64 v[48:49], v69 offset:28696
	ds_read_b64 v[96:97], v70 offset:28696
	s_waitcnt lgkmcnt(1)
	ds_write_b64 v70, v[48:49] offset:28696
	s_waitcnt lgkmcnt(1)
	v_lshl_add_u64 v[48:49], v[48:49], 0, v[96:97]
	ds_write_b64 v69, v[48:49] offset:28696
.LBB1_121:                              ;   in Loop: Header=BB1_103 Depth=2
	s_or_b64 exec, exec, s[72:73]
	s_waitcnt lgkmcnt(0)
	s_barrier
	s_and_saveexec_b64 s[72:73], s[56:57]
	s_cbranch_execz .LBB1_123
; %bb.122:                              ;   in Loop: Header=BB1_103 Depth=2
	ds_read_b64 v[48:49], v67 offset:28696
	ds_read_b64 v[96:97], v68 offset:28696
	s_waitcnt lgkmcnt(1)
	ds_write_b64 v68, v[48:49] offset:28696
	s_waitcnt lgkmcnt(1)
	v_lshl_add_u64 v[48:49], v[48:49], 0, v[96:97]
	ds_write_b64 v67, v[48:49] offset:28696
.LBB1_123:                              ;   in Loop: Header=BB1_103 Depth=2
	;; [unrolled: 14-line block ×5, first 2 shown]
	s_or_b64 exec, exec, s[72:73]
	s_waitcnt lgkmcnt(0)
	s_barrier
	s_and_saveexec_b64 s[72:73], s[48:49]
	s_cbranch_execz .LBB1_131
; %bb.130:                              ;   in Loop: Header=BB1_103 Depth=2
	v_add_u32_e32 v48, v60, v59
	ds_read_b128 v[96:99], v48
	s_waitcnt lgkmcnt(0)
	v_lshl_add_u64 v[114:115], v[98:99], 0, v[96:97]
	v_mov_b32_e32 v112, v98
	v_mov_b32_e32 v113, v99
	ds_write_b128 v48, v[112:115]
.LBB1_131:                              ;   in Loop: Header=BB1_103 Depth=2
	s_or_b64 exec, exec, s[72:73]
	s_waitcnt lgkmcnt(0)
	s_barrier
	s_barrier
	ds_read_b64 v[48:49], v50 offset:29728
	s_waitcnt lgkmcnt(0)
	s_barrier
	ds_read_b64 v[96:97], v60
	s_waitcnt lgkmcnt(0)
	ds_write_b64 v94, v[96:97]
	s_and_saveexec_b64 s[72:73], s[60:61]
	s_cbranch_execz .LBB1_102
; %bb.132:                              ;   in Loop: Header=BB1_103 Depth=2
	v_mov_b32_e32 v94, s62
	ds_write_b64 v94, v[48:49] offset:28672
	s_branch .LBB1_102
.LBB1_133:                              ;   in Loop: Header=BB1_53 Depth=1
	s_waitcnt lgkmcnt(0)
	s_barrier
	s_and_saveexec_b64 s[62:63], s[54:55]
	s_cbranch_execz .LBB1_135
; %bb.134:                              ;   in Loop: Header=BB1_53 Depth=1
	scratch_load_dword v49, off, off offset:16 ; 4-byte Folded Reload
	s_waitcnt vmcnt(0)
	ds_read_b32 v48, v49 offset:4096
	s_waitcnt lgkmcnt(0)
	v_add_u16_sdwa v48, v48, v48 dst_sel:DWORD dst_unused:UNUSED_PAD src0_sel:WORD_1 src1_sel:DWORD
	ds_write_b16 v49, v48 offset:4098
.LBB1_135:                              ;   in Loop: Header=BB1_53 Depth=1
	s_or_b64 exec, exec, s[62:63]
	s_waitcnt lgkmcnt(0)
	s_barrier
	s_and_saveexec_b64 s[62:63], s[56:57]
	s_cbranch_execz .LBB1_137
; %bb.136:                              ;   in Loop: Header=BB1_53 Depth=1
	scratch_load_dword v48, off, off        ; 4-byte Folded Reload
	scratch_load_dword v94, off, off offset:4 ; 4-byte Folded Reload
	s_waitcnt vmcnt(1)
	ds_read_u16 v48, v48 offset:28670
	s_waitcnt vmcnt(0)
	ds_read_u16 v49, v94 offset:28670
	s_waitcnt lgkmcnt(0)
	v_add_u16_e32 v48, v49, v48
	ds_write_b16 v94, v48 offset:28670
.LBB1_137:                              ;   in Loop: Header=BB1_53 Depth=1
	s_or_b64 exec, exec, s[62:63]
	s_waitcnt lgkmcnt(0)
	s_barrier
	s_and_saveexec_b64 s[62:63], s[58:59]
	s_cbranch_execz .LBB1_139
; %bb.138:                              ;   in Loop: Header=BB1_53 Depth=1
	scratch_load_dword v48, off, off offset:8 ; 4-byte Folded Reload
	scratch_load_dword v94, off, off offset:12 ; 4-byte Folded Reload
	s_waitcnt vmcnt(1)
	ds_read_u16 v48, v48 offset:28670
	s_waitcnt vmcnt(0)
	ds_read_u16 v49, v94 offset:28670
	s_waitcnt lgkmcnt(0)
	v_add_u16_e32 v48, v49, v48
	ds_write_b16 v94, v48 offset:28670
.LBB1_139:                              ;   in Loop: Header=BB1_53 Depth=1
	s_or_b64 exec, exec, s[62:63]
	s_waitcnt lgkmcnt(0)
	s_barrier
	s_and_saveexec_b64 s[62:63], s[60:61]
	s_cbranch_execz .LBB1_141
; %bb.140:                              ;   in Loop: Header=BB1_53 Depth=1
	ds_read_u16 v48, v50 offset:28686
	ds_read_u16 v49, v50 offset:28702
	s_waitcnt lgkmcnt(0)
	v_add_u32_e32 v48, v49, v48
	ds_write_b16 v50, v48 offset:28702
.LBB1_141:                              ;   in Loop: Header=BB1_53 Depth=1
	s_or_b64 exec, exec, s[62:63]
	s_waitcnt lgkmcnt(0)
	s_barrier
	s_barrier
	s_and_saveexec_b64 s[62:63], s[60:61]
	s_cbranch_execz .LBB1_143
; %bb.142:                              ;   in Loop: Header=BB1_53 Depth=1
	ds_read_u16 v48, v50 offset:28702
	s_waitcnt lgkmcnt(0)
	ds_write_b16 v50, v48 offset:29736
	s_waitcnt lgkmcnt(0)
	ds_write_b16 v50, v50 offset:28702
	s_waitcnt lgkmcnt(0)
	ds_read_u16 v48, v50 offset:28702
	ds_read_u16 v49, v50 offset:28686
	s_waitcnt lgkmcnt(1)
	ds_write_b16 v50, v48 offset:28686
	s_waitcnt lgkmcnt(1)
	v_add_u32_e32 v48, v48, v49
	ds_write_b16 v50, v48 offset:28702
.LBB1_143:                              ;   in Loop: Header=BB1_53 Depth=1
	s_or_b64 exec, exec, s[62:63]
	s_waitcnt lgkmcnt(0)
	s_barrier
	s_and_saveexec_b64 s[62:63], s[58:59]
	s_cbranch_execz .LBB1_145
; %bb.144:                              ;   in Loop: Header=BB1_53 Depth=1
	scratch_load_dword v96, off, off offset:12 ; 4-byte Folded Reload
	scratch_load_dword v94, off, off offset:8 ; 4-byte Folded Reload
	s_waitcnt vmcnt(1)
	ds_read_u16 v48, v96 offset:28670
	s_waitcnt vmcnt(0)
	ds_read_u16 v49, v94 offset:28670
	s_waitcnt lgkmcnt(1)
	ds_write_b16 v94, v48 offset:28670
	s_waitcnt lgkmcnt(1)
	v_add_u16_e32 v48, v48, v49
	ds_write_b16 v96, v48 offset:28670
.LBB1_145:                              ;   in Loop: Header=BB1_53 Depth=1
	s_or_b64 exec, exec, s[62:63]
	s_waitcnt lgkmcnt(0)
	s_barrier
	s_and_saveexec_b64 s[62:63], s[56:57]
	s_cbranch_execz .LBB1_147
; %bb.146:                              ;   in Loop: Header=BB1_53 Depth=1
	scratch_load_dword v96, off, off offset:4 ; 4-byte Folded Reload
	scratch_load_dword v94, off, off        ; 4-byte Folded Reload
	s_waitcnt vmcnt(1)
	ds_read_u16 v48, v96 offset:28670
	s_waitcnt vmcnt(0)
	ds_read_u16 v49, v94 offset:28670
	s_waitcnt lgkmcnt(1)
	ds_write_b16 v94, v48 offset:28670
	s_waitcnt lgkmcnt(1)
	v_add_u16_e32 v48, v48, v49
	ds_write_b16 v96, v48 offset:28670
.LBB1_147:                              ;   in Loop: Header=BB1_53 Depth=1
	s_or_b64 exec, exec, s[62:63]
	s_waitcnt lgkmcnt(0)
	s_barrier
	s_and_saveexec_b64 s[62:63], s[54:55]
	s_cbranch_execz .LBB1_52
; %bb.148:                              ;   in Loop: Header=BB1_53 Depth=1
	scratch_load_dword v94, off, off offset:16 ; 4-byte Folded Reload
	s_waitcnt vmcnt(0)
	ds_read_b32 v48, v94 offset:4096
	s_waitcnt lgkmcnt(0)
	v_add_u16_sdwa v49, v48, v48 dst_sel:DWORD dst_unused:UNUSED_PAD src0_sel:WORD_1 src1_sel:DWORD
	v_alignbit_b32 v48, v49, v48, 16
	ds_write_b32 v94, v48 offset:4096
	s_branch .LBB1_52
.LBB1_149:
	s_and_saveexec_b64 s[48:49], vcc
	s_cbranch_execnz .LBB1_173
; %bb.150:
	s_or_b64 exec, exec, s[48:49]
	s_and_saveexec_b64 s[48:49], s[0:1]
	s_cbranch_execnz .LBB1_174
.LBB1_151:
	s_or_b64 exec, exec, s[48:49]
	s_and_saveexec_b64 s[0:1], s[2:3]
	s_cbranch_execnz .LBB1_175
.LBB1_152:
	s_or_b64 exec, exec, s[0:1]
	s_and_saveexec_b64 s[0:1], s[4:5]
	s_cbranch_execnz .LBB1_176
.LBB1_153:
	s_or_b64 exec, exec, s[0:1]
	s_and_saveexec_b64 s[0:1], s[6:7]
	s_cbranch_execnz .LBB1_177
.LBB1_154:
	s_or_b64 exec, exec, s[0:1]
	s_and_saveexec_b64 s[0:1], s[8:9]
	s_cbranch_execnz .LBB1_178
.LBB1_155:
	s_or_b64 exec, exec, s[0:1]
	s_and_saveexec_b64 s[0:1], s[10:11]
	s_cbranch_execnz .LBB1_179
.LBB1_156:
	s_or_b64 exec, exec, s[0:1]
	s_and_saveexec_b64 s[0:1], s[12:13]
	s_cbranch_execnz .LBB1_180
.LBB1_157:
	s_or_b64 exec, exec, s[0:1]
	s_and_saveexec_b64 s[0:1], s[14:15]
	s_cbranch_execnz .LBB1_181
.LBB1_158:
	s_or_b64 exec, exec, s[0:1]
	s_and_saveexec_b64 s[0:1], s[16:17]
	s_cbranch_execnz .LBB1_182
.LBB1_159:
	s_or_b64 exec, exec, s[0:1]
	s_and_saveexec_b64 s[0:1], s[18:19]
	s_cbranch_execnz .LBB1_183
.LBB1_160:
	s_or_b64 exec, exec, s[0:1]
	s_and_saveexec_b64 s[0:1], s[20:21]
	s_cbranch_execnz .LBB1_184
.LBB1_161:
	s_or_b64 exec, exec, s[0:1]
	s_and_saveexec_b64 s[0:1], s[22:23]
	s_cbranch_execnz .LBB1_185
.LBB1_162:
	s_or_b64 exec, exec, s[0:1]
	s_and_saveexec_b64 s[0:1], s[24:25]
	s_cbranch_execnz .LBB1_186
.LBB1_163:
	s_or_b64 exec, exec, s[0:1]
	s_and_saveexec_b64 s[0:1], s[26:27]
	s_cbranch_execnz .LBB1_187
.LBB1_164:
	s_or_b64 exec, exec, s[0:1]
	s_and_saveexec_b64 s[0:1], s[28:29]
	s_cbranch_execnz .LBB1_188
.LBB1_165:
	s_or_b64 exec, exec, s[0:1]
	s_and_saveexec_b64 s[0:1], s[30:31]
	s_cbranch_execnz .LBB1_189
.LBB1_166:
	s_or_b64 exec, exec, s[0:1]
	s_and_saveexec_b64 s[0:1], s[34:35]
	s_cbranch_execnz .LBB1_190
.LBB1_167:
	s_or_b64 exec, exec, s[0:1]
	s_and_saveexec_b64 s[0:1], s[36:37]
	s_cbranch_execnz .LBB1_191
.LBB1_168:
	s_or_b64 exec, exec, s[0:1]
	s_and_saveexec_b64 s[0:1], s[38:39]
	s_cbranch_execnz .LBB1_192
.LBB1_169:
	s_or_b64 exec, exec, s[0:1]
	s_and_saveexec_b64 s[0:1], s[40:41]
	s_cbranch_execnz .LBB1_193
.LBB1_170:
	s_or_b64 exec, exec, s[0:1]
	s_and_saveexec_b64 s[0:1], s[42:43]
	s_cbranch_execnz .LBB1_194
.LBB1_171:
	s_or_b64 exec, exec, s[0:1]
	s_and_saveexec_b64 s[0:1], s[44:45]
	s_cbranch_execnz .LBB1_195
.LBB1_172:
	s_or_b64 exec, exec, s[0:1]
	s_and_saveexec_b64 s[0:1], s[46:47]
	s_cbranch_execz .LBB1_1
	s_branch .LBB1_196
.LBB1_173:
	s_waitcnt lgkmcnt(11)
	global_store_dword v56, v2, s[64:65]
	s_waitcnt lgkmcnt(7)
	global_store_dword v56, v10, s[66:67]
	s_or_b64 exec, exec, s[48:49]
	s_and_saveexec_b64 s[48:49], s[0:1]
	s_cbranch_execz .LBB1_151
.LBB1_174:
	s_waitcnt lgkmcnt(11)
	global_store_dword v56, v3, s[64:65] offset:4
	s_waitcnt lgkmcnt(7)
	global_store_dword v56, v11, s[66:67] offset:4
	s_or_b64 exec, exec, s[48:49]
	s_and_saveexec_b64 s[0:1], s[2:3]
	s_cbranch_execz .LBB1_152
.LBB1_175:
	s_waitcnt lgkmcnt(11)
	global_store_dword v56, v4, s[64:65] offset:8
	s_waitcnt lgkmcnt(7)
	global_store_dword v56, v12, s[66:67] offset:8
	s_or_b64 exec, exec, s[0:1]
	s_and_saveexec_b64 s[0:1], s[4:5]
	s_cbranch_execz .LBB1_153
.LBB1_176:
	s_waitcnt lgkmcnt(11)
	global_store_dword v56, v5, s[64:65] offset:12
	s_waitcnt lgkmcnt(7)
	global_store_dword v56, v13, s[66:67] offset:12
	s_or_b64 exec, exec, s[0:1]
	s_and_saveexec_b64 s[0:1], s[6:7]
	s_cbranch_execz .LBB1_154
.LBB1_177:
	s_waitcnt lgkmcnt(10)
	global_store_dword v56, v6, s[64:65] offset:16
	s_waitcnt lgkmcnt(6)
	global_store_dword v56, v18, s[66:67] offset:16
	s_or_b64 exec, exec, s[0:1]
	s_and_saveexec_b64 s[0:1], s[8:9]
	s_cbranch_execz .LBB1_155
.LBB1_178:
	s_waitcnt lgkmcnt(10)
	global_store_dword v56, v7, s[64:65] offset:20
	s_waitcnt lgkmcnt(6)
	global_store_dword v56, v19, s[66:67] offset:20
	s_or_b64 exec, exec, s[0:1]
	s_and_saveexec_b64 s[0:1], s[10:11]
	s_cbranch_execz .LBB1_156
.LBB1_179:
	s_waitcnt lgkmcnt(10)
	global_store_dword v56, v8, s[64:65] offset:24
	s_waitcnt lgkmcnt(6)
	global_store_dword v56, v20, s[66:67] offset:24
	s_or_b64 exec, exec, s[0:1]
	s_and_saveexec_b64 s[0:1], s[12:13]
	s_cbranch_execz .LBB1_157
.LBB1_180:
	s_waitcnt lgkmcnt(10)
	global_store_dword v56, v9, s[64:65] offset:28
	s_waitcnt lgkmcnt(6)
	global_store_dword v56, v21, s[66:67] offset:28
	s_or_b64 exec, exec, s[0:1]
	s_and_saveexec_b64 s[0:1], s[14:15]
	s_cbranch_execz .LBB1_158
.LBB1_181:
	s_waitcnt lgkmcnt(9)
	global_store_dword v56, v14, s[64:65] offset:32
	s_waitcnt lgkmcnt(5)
	global_store_dword v56, v26, s[66:67] offset:32
	s_or_b64 exec, exec, s[0:1]
	s_and_saveexec_b64 s[0:1], s[16:17]
	s_cbranch_execz .LBB1_159
.LBB1_182:
	s_waitcnt lgkmcnt(9)
	global_store_dword v56, v15, s[64:65] offset:36
	s_waitcnt lgkmcnt(5)
	global_store_dword v56, v27, s[66:67] offset:36
	s_or_b64 exec, exec, s[0:1]
	s_and_saveexec_b64 s[0:1], s[18:19]
	s_cbranch_execz .LBB1_160
.LBB1_183:
	s_waitcnt lgkmcnt(9)
	global_store_dword v56, v16, s[64:65] offset:40
	s_waitcnt lgkmcnt(5)
	global_store_dword v56, v28, s[66:67] offset:40
	s_or_b64 exec, exec, s[0:1]
	s_and_saveexec_b64 s[0:1], s[20:21]
	s_cbranch_execz .LBB1_161
.LBB1_184:
	s_waitcnt lgkmcnt(9)
	global_store_dword v56, v17, s[64:65] offset:44
	s_waitcnt lgkmcnt(5)
	global_store_dword v56, v29, s[66:67] offset:44
	s_or_b64 exec, exec, s[0:1]
	s_and_saveexec_b64 s[0:1], s[22:23]
	s_cbranch_execz .LBB1_162
.LBB1_185:
	s_waitcnt lgkmcnt(8)
	global_store_dword v56, v22, s[64:65] offset:48
	s_waitcnt lgkmcnt(4)
	global_store_dword v56, v30, s[66:67] offset:48
	s_or_b64 exec, exec, s[0:1]
	s_and_saveexec_b64 s[0:1], s[24:25]
	s_cbranch_execz .LBB1_163
.LBB1_186:
	s_waitcnt lgkmcnt(8)
	global_store_dword v56, v23, s[64:65] offset:52
	s_waitcnt lgkmcnt(4)
	global_store_dword v56, v31, s[66:67] offset:52
	s_or_b64 exec, exec, s[0:1]
	s_and_saveexec_b64 s[0:1], s[26:27]
	s_cbranch_execz .LBB1_164
.LBB1_187:
	s_waitcnt lgkmcnt(8)
	global_store_dword v56, v24, s[64:65] offset:56
	s_waitcnt lgkmcnt(4)
	global_store_dword v56, v32, s[66:67] offset:56
	s_or_b64 exec, exec, s[0:1]
	s_and_saveexec_b64 s[0:1], s[28:29]
	s_cbranch_execz .LBB1_165
.LBB1_188:
	s_waitcnt lgkmcnt(8)
	global_store_dword v56, v25, s[64:65] offset:60
	s_waitcnt lgkmcnt(4)
	global_store_dword v56, v33, s[66:67] offset:60
	s_or_b64 exec, exec, s[0:1]
	s_and_saveexec_b64 s[0:1], s[30:31]
	s_cbranch_execz .LBB1_166
.LBB1_189:
	s_waitcnt lgkmcnt(3)
	global_store_dword v56, v34, s[64:65] offset:64
	s_waitcnt lgkmcnt(2)
	global_store_dword v56, v38, s[66:67] offset:64
	s_or_b64 exec, exec, s[0:1]
	s_and_saveexec_b64 s[0:1], s[34:35]
	s_cbranch_execz .LBB1_167
.LBB1_190:
	s_waitcnt lgkmcnt(3)
	global_store_dword v56, v35, s[64:65] offset:68
	s_waitcnt lgkmcnt(2)
	global_store_dword v56, v39, s[66:67] offset:68
	s_or_b64 exec, exec, s[0:1]
	s_and_saveexec_b64 s[0:1], s[36:37]
	s_cbranch_execz .LBB1_168
.LBB1_191:
	s_waitcnt lgkmcnt(3)
	global_store_dword v56, v36, s[64:65] offset:72
	s_waitcnt lgkmcnt(2)
	global_store_dword v56, v40, s[66:67] offset:72
	s_or_b64 exec, exec, s[0:1]
	s_and_saveexec_b64 s[0:1], s[38:39]
	s_cbranch_execz .LBB1_169
.LBB1_192:
	s_waitcnt lgkmcnt(3)
	global_store_dword v56, v37, s[64:65] offset:76
	s_waitcnt lgkmcnt(2)
	global_store_dword v56, v41, s[66:67] offset:76
	s_or_b64 exec, exec, s[0:1]
	s_and_saveexec_b64 s[0:1], s[40:41]
	s_cbranch_execz .LBB1_170
.LBB1_193:
	s_waitcnt lgkmcnt(1)
	global_store_dword v56, v42, s[64:65] offset:80
	s_waitcnt lgkmcnt(0)
	global_store_dword v56, v46, s[66:67] offset:80
	s_or_b64 exec, exec, s[0:1]
	s_and_saveexec_b64 s[0:1], s[42:43]
	s_cbranch_execz .LBB1_171
.LBB1_194:
	s_waitcnt lgkmcnt(1)
	global_store_dword v56, v43, s[64:65] offset:84
	s_waitcnt lgkmcnt(0)
	global_store_dword v56, v47, s[66:67] offset:84
	s_or_b64 exec, exec, s[0:1]
	s_and_saveexec_b64 s[0:1], s[44:45]
	s_cbranch_execz .LBB1_172
.LBB1_195:
	s_waitcnt lgkmcnt(1)
	global_store_dword v56, v44, s[64:65] offset:88
	s_waitcnt lgkmcnt(0)
	global_store_dword v56, v48, s[66:67] offset:88
	s_or_b64 exec, exec, s[0:1]
	s_and_saveexec_b64 s[0:1], s[46:47]
	s_cbranch_execz .LBB1_1
.LBB1_196:
	s_waitcnt lgkmcnt(1)
	global_store_dword v56, v45, s[64:65] offset:92
	s_waitcnt lgkmcnt(0)
	global_store_dword v56, v49, s[66:67] offset:92
	s_endpgm
	.section	.rodata,"a",@progbits
	.p2align	6, 0x0
	.amdhsa_kernel SortSinglePassKVKernel
		.amdhsa_group_segment_fixed_size 29744
		.amdhsa_private_segment_fixed_size 116
		.amdhsa_kernarg_size 44
		.amdhsa_user_sgpr_count 2
		.amdhsa_user_sgpr_dispatch_ptr 0
		.amdhsa_user_sgpr_queue_ptr 0
		.amdhsa_user_sgpr_kernarg_segment_ptr 1
		.amdhsa_user_sgpr_dispatch_id 0
		.amdhsa_user_sgpr_kernarg_preload_length 0
		.amdhsa_user_sgpr_kernarg_preload_offset 0
		.amdhsa_user_sgpr_private_segment_size 0
		.amdhsa_uses_dynamic_stack 0
		.amdhsa_enable_private_segment 1
		.amdhsa_system_sgpr_workgroup_id_x 1
		.amdhsa_system_sgpr_workgroup_id_y 0
		.amdhsa_system_sgpr_workgroup_id_z 0
		.amdhsa_system_sgpr_workgroup_info 0
		.amdhsa_system_vgpr_workitem_id 0
		.amdhsa_next_free_vgpr 128
		.amdhsa_next_free_sgpr 74
		.amdhsa_accum_offset 128
		.amdhsa_reserve_vcc 1
		.amdhsa_float_round_mode_32 0
		.amdhsa_float_round_mode_16_64 0
		.amdhsa_float_denorm_mode_32 3
		.amdhsa_float_denorm_mode_16_64 3
		.amdhsa_dx10_clamp 1
		.amdhsa_ieee_mode 1
		.amdhsa_fp16_overflow 0
		.amdhsa_tg_split 0
		.amdhsa_exception_fp_ieee_invalid_op 0
		.amdhsa_exception_fp_denorm_src 0
		.amdhsa_exception_fp_ieee_div_zero 0
		.amdhsa_exception_fp_ieee_overflow 0
		.amdhsa_exception_fp_ieee_underflow 0
		.amdhsa_exception_fp_ieee_inexact 0
		.amdhsa_exception_int_div_zero 0
	.end_amdhsa_kernel
	.text
.Lfunc_end1:
	.size	SortSinglePassKVKernel, .Lfunc_end1-SortSinglePassKVKernel
                                        ; -- End function
	.set SortSinglePassKVKernel.num_vgpr, 128
	.set SortSinglePassKVKernel.num_agpr, 0
	.set SortSinglePassKVKernel.numbered_sgpr, 74
	.set SortSinglePassKVKernel.num_named_barrier, 0
	.set SortSinglePassKVKernel.private_seg_size, 116
	.set SortSinglePassKVKernel.uses_vcc, 1
	.set SortSinglePassKVKernel.uses_flat_scratch, 0
	.set SortSinglePassKVKernel.has_dyn_sized_stack, 0
	.set SortSinglePassKVKernel.has_recursion, 0
	.set SortSinglePassKVKernel.has_indirect_call, 0
	.section	.AMDGPU.csdata,"",@progbits
; Kernel info:
; codeLenInByte = 13340
; TotalNumSgprs: 80
; NumVgprs: 128
; NumAgprs: 0
; TotalNumVgprs: 128
; ScratchSize: 116
; MemoryBound: 0
; FloatMode: 240
; IeeeMode: 1
; LDSByteSize: 29744 bytes/workgroup (compile time only)
; SGPRBlocks: 9
; VGPRBlocks: 15
; NumSGPRsForWavesPerEU: 80
; NumVGPRsForWavesPerEU: 128
; AccumOffset: 128
; Occupancy: 4
; WaveLimiterHint : 0
; COMPUTE_PGM_RSRC2:SCRATCH_EN: 1
; COMPUTE_PGM_RSRC2:USER_SGPR: 2
; COMPUTE_PGM_RSRC2:TRAP_HANDLER: 0
; COMPUTE_PGM_RSRC2:TGID_X_EN: 1
; COMPUTE_PGM_RSRC2:TGID_Y_EN: 0
; COMPUTE_PGM_RSRC2:TGID_Z_EN: 0
; COMPUTE_PGM_RSRC2:TIDIG_COMP_CNT: 0
; COMPUTE_PGM_RSRC3_GFX90A:ACCUM_OFFSET: 31
; COMPUTE_PGM_RSRC3_GFX90A:TG_SPLIT: 0
	.text
	.protected	GHistogram              ; -- Begin function GHistogram
	.globl	GHistogram
	.p2align	8
	.type	GHistogram,@function
GHistogram:                             ; @GHistogram
; %bb.0:
	s_movk_i32 s2, 0x100
	v_cmp_gt_u32_e64 s[2:3], s2, v0
	v_lshlrev_b32_e32 v1, 2, v0
	s_and_saveexec_b64 s[4:5], s[2:3]
	s_cbranch_execz .LBB2_2
; %bb.1:
	v_mov_b32_e32 v2, 0
	ds_write2st64_b32 v1, v2, v2 offset1:4
	ds_write2st64_b32 v1, v2, v2 offset0:8 offset1:12
.LBB2_2:
	s_or_b64 exec, exec, s[4:5]
	s_load_dword s12, s[0:1], 0x8
	s_load_dwordx2 s[6:7], s[0:1], 0x0
	s_load_dword s13, s[0:1], 0x18
	s_load_dwordx2 s[8:9], s[0:1], 0x20
	v_cmp_eq_u32_e64 s[4:5], 0, v0
	s_waitcnt lgkmcnt(0)
	s_add_i32 s10, s12, 0x7ff
	s_lshr_b32 s14, s10, 11
	v_lshlrev_b32_e32 v4, 3, v0
	s_add_i32 s15, s13, 8
	s_add_i32 s16, s13, 16
	;; [unrolled: 1-line block ×3, first 2 shown]
	v_mov_b32_e32 v5, -1
	v_mov_b32_e32 v3, 0
	s_branch .LBB2_5
.LBB2_3:                                ;   in Loop: Header=BB2_5 Depth=1
	s_or_b64 exec, exec, s[10:11]
	s_mov_b64 s[10:11], 0
	s_waitcnt lgkmcnt(0)
	s_barrier
.LBB2_4:                                ;   in Loop: Header=BB2_5 Depth=1
	s_and_b64 vcc, exec, s[10:11]
	s_cbranch_vccnz .LBB2_24
.LBB2_5:                                ; =>This Inner Loop Header: Depth=1
	s_and_saveexec_b64 s[10:11], s[4:5]
	s_cbranch_execz .LBB2_7
; %bb.6:                                ;   in Loop: Header=BB2_5 Depth=1
	global_atomic_inc v2, v3, v5, s[8:9] sc0
	s_waitcnt vmcnt(0)
	ds_write_b32 v3, v2 offset:4096
.LBB2_7:                                ;   in Loop: Header=BB2_5 Depth=1
	s_or_b64 exec, exec, s[10:11]
	s_waitcnt lgkmcnt(0)
	s_barrier
	ds_read_b32 v2, v3 offset:4096
	s_mov_b64 s[10:11], -1
	s_waitcnt lgkmcnt(0)
	v_cmp_le_u32_e32 vcc, s14, v2
	s_cbranch_vccnz .LBB2_4
; %bb.8:                                ;   in Loop: Header=BB2_5 Depth=1
	v_lshl_add_u32 v2, v2, 11, v4
	v_cmp_gt_u32_e32 vcc, s12, v2
	s_and_saveexec_b64 s[10:11], vcc
	s_cbranch_execz .LBB2_10
; %bb.9:                                ;   in Loop: Header=BB2_5 Depth=1
	v_lshl_add_u64 v[6:7], v[2:3], 2, s[6:7]
	global_load_dword v6, v[6:7], off
	s_waitcnt vmcnt(0)
	v_bfe_u32 v7, v6, s13, 8
	v_bfe_u32 v8, v6, s15, 8
	;; [unrolled: 1-line block ×3, first 2 shown]
	v_lshlrev_b32_e32 v7, 2, v7
	v_bfe_u32 v6, v6, s17, 8
	v_lshlrev_b32_e32 v8, 2, v8
	v_lshlrev_b32_e32 v9, 2, v9
	ds_inc_u32 v7, v5
	ds_inc_u32 v8, v5 offset:1024
	ds_inc_u32 v9, v5 offset:2048
	v_lshlrev_b32_e32 v6, 2, v6
	ds_inc_u32 v6, v5 offset:3072
.LBB2_10:                               ;   in Loop: Header=BB2_5 Depth=1
	s_or_b64 exec, exec, s[10:11]
	v_or_b32_e32 v6, 1, v2
	v_cmp_gt_u32_e32 vcc, s12, v6
	s_and_saveexec_b64 s[10:11], vcc
	s_cbranch_execz .LBB2_12
; %bb.11:                               ;   in Loop: Header=BB2_5 Depth=1
	v_lshl_add_u64 v[6:7], v[2:3], 2, s[6:7]
	global_load_dword v6, v[6:7], off offset:4
	s_waitcnt vmcnt(0)
	v_bfe_u32 v7, v6, s13, 8
	v_bfe_u32 v8, v6, s15, 8
	v_bfe_u32 v9, v6, s16, 8
	v_lshlrev_b32_e32 v7, 2, v7
	v_bfe_u32 v6, v6, s17, 8
	v_lshlrev_b32_e32 v8, 2, v8
	v_lshlrev_b32_e32 v9, 2, v9
	ds_inc_u32 v7, v5
	ds_inc_u32 v8, v5 offset:1024
	ds_inc_u32 v9, v5 offset:2048
	v_lshlrev_b32_e32 v6, 2, v6
	ds_inc_u32 v6, v5 offset:3072
.LBB2_12:                               ;   in Loop: Header=BB2_5 Depth=1
	s_or_b64 exec, exec, s[10:11]
	v_or_b32_e32 v6, 2, v2
	v_cmp_gt_u32_e32 vcc, s12, v6
	s_and_saveexec_b64 s[10:11], vcc
	s_cbranch_execz .LBB2_14
; %bb.13:                               ;   in Loop: Header=BB2_5 Depth=1
	v_lshl_add_u64 v[6:7], v[2:3], 2, s[6:7]
	global_load_dword v6, v[6:7], off offset:8
	s_waitcnt vmcnt(0)
	v_bfe_u32 v7, v6, s13, 8
	v_bfe_u32 v8, v6, s15, 8
	v_bfe_u32 v9, v6, s16, 8
	v_lshlrev_b32_e32 v7, 2, v7
	v_bfe_u32 v6, v6, s17, 8
	v_lshlrev_b32_e32 v8, 2, v8
	v_lshlrev_b32_e32 v9, 2, v9
	ds_inc_u32 v7, v5
	ds_inc_u32 v8, v5 offset:1024
	ds_inc_u32 v9, v5 offset:2048
	v_lshlrev_b32_e32 v6, 2, v6
	ds_inc_u32 v6, v5 offset:3072
.LBB2_14:                               ;   in Loop: Header=BB2_5 Depth=1
	;; [unrolled: 22-line block ×6, first 2 shown]
	s_or_b64 exec, exec, s[10:11]
	v_or_b32_e32 v6, 7, v2
	v_cmp_gt_u32_e32 vcc, s12, v6
	s_and_saveexec_b64 s[10:11], vcc
	s_cbranch_execz .LBB2_3
; %bb.23:                               ;   in Loop: Header=BB2_5 Depth=1
	v_lshl_add_u64 v[6:7], v[2:3], 2, s[6:7]
	global_load_dword v2, v[6:7], off offset:28
	s_waitcnt vmcnt(0)
	v_bfe_u32 v6, v2, s13, 8
	v_bfe_u32 v7, v2, s15, 8
	v_bfe_u32 v8, v2, s16, 8
	v_lshlrev_b32_e32 v6, 2, v6
	v_bfe_u32 v2, v2, s17, 8
	v_lshlrev_b32_e32 v7, 2, v7
	v_lshlrev_b32_e32 v8, 2, v8
	ds_inc_u32 v6, v5
	ds_inc_u32 v7, v5 offset:1024
	ds_inc_u32 v8, v5 offset:2048
	v_lshlrev_b32_e32 v2, 2, v2
	ds_inc_u32 v2, v5 offset:3072
	s_branch .LBB2_3
.LBB2_24:
	s_movk_i32 s4, 0x100
	v_cmp_gt_u32_e32 vcc, s4, v0
	v_mov_b32_e32 v2, 0
	s_and_saveexec_b64 s[4:5], vcc
; %bb.25:
	ds_read_b32 v2, v1
; %bb.26:
	s_or_b64 exec, exec, s[4:5]
	s_movk_i32 s4, 0xff00
	v_add_u32_e32 v4, 0xffffff00, v0
	v_cmp_lt_u32_e64 s[4:5], s4, v4
	s_waitcnt lgkmcnt(0)
	v_mov_b32_e32 v3, v2
	s_and_saveexec_b64 s[6:7], s[4:5]
	s_cbranch_execz .LBB2_28
; %bb.27:
	v_add_u32_e32 v3, -4, v1
	ds_read_b32 v3, v3
	s_waitcnt lgkmcnt(0)
	v_add_u32_e32 v3, v3, v2
.LBB2_28:
	s_or_b64 exec, exec, s[6:7]
	s_barrier
	s_and_saveexec_b64 s[6:7], vcc
; %bb.29:
	ds_write_b32 v1, v3
; %bb.30:
	s_or_b64 exec, exec, s[6:7]
	s_movk_i32 s6, 0xff01
	v_cmp_lt_u32_e64 s[6:7], s6, v4
	s_waitcnt lgkmcnt(0)
	s_barrier
	s_and_saveexec_b64 s[8:9], s[6:7]
	s_cbranch_execz .LBB2_32
; %bb.31:
	v_add_u32_e32 v5, -8, v1
	ds_read_b32 v5, v5
	s_waitcnt lgkmcnt(0)
	v_add_u32_e32 v3, v5, v3
.LBB2_32:
	s_or_b64 exec, exec, s[8:9]
	s_barrier
	s_and_saveexec_b64 s[8:9], vcc
; %bb.33:
	ds_write_b32 v1, v3
; %bb.34:
	s_or_b64 exec, exec, s[8:9]
	s_movk_i32 s8, 0xff03
	v_cmp_lt_u32_e64 s[8:9], s8, v4
	s_waitcnt lgkmcnt(0)
	s_barrier
	;; [unrolled: 19-line block ×3, first 2 shown]
	s_and_saveexec_b64 s[12:13], s[10:11]
	s_cbranch_execz .LBB2_40
; %bb.39:
	v_subrev_u32_e32 v5, 32, v1
	ds_read_b32 v5, v5
	s_waitcnt lgkmcnt(0)
	v_add_u32_e32 v3, v5, v3
.LBB2_40:
	s_or_b64 exec, exec, s[12:13]
	s_barrier
	s_and_saveexec_b64 s[12:13], vcc
; %bb.41:
	ds_write_b32 v1, v3
; %bb.42:
	s_or_b64 exec, exec, s[12:13]
	s_movk_i32 s12, 0xff0f
	v_cmp_lt_u32_e64 s[12:13], s12, v4
	s_waitcnt lgkmcnt(0)
	s_barrier
	s_and_saveexec_b64 s[14:15], s[12:13]
	s_cbranch_execz .LBB2_44
; %bb.43:
	v_subrev_u32_e32 v5, 64, v1
	ds_read_b32 v5, v5
	s_waitcnt lgkmcnt(0)
	v_add_u32_e32 v3, v5, v3
.LBB2_44:
	s_or_b64 exec, exec, s[14:15]
	s_barrier
	s_and_saveexec_b64 s[14:15], vcc
; %bb.45:
	ds_write_b32 v1, v3
; %bb.46:
	s_or_b64 exec, exec, s[14:15]
	s_movk_i32 s14, 0xff1f
	v_cmp_lt_u32_e64 s[14:15], s14, v4
	s_waitcnt lgkmcnt(0)
	s_barrier
	s_and_saveexec_b64 s[16:17], s[14:15]
	s_cbranch_execz .LBB2_48
; %bb.47:
	v_add_u32_e32 v5, 0xffffff80, v1
	ds_read_b32 v5, v5
	s_waitcnt lgkmcnt(0)
	v_add_u32_e32 v3, v5, v3
.LBB2_48:
	s_or_b64 exec, exec, s[16:17]
	s_barrier
	s_and_saveexec_b64 s[16:17], vcc
; %bb.49:
	ds_write_b32 v1, v3
; %bb.50:
	s_or_b64 exec, exec, s[16:17]
	s_movk_i32 s16, 0xff3f
	v_cmp_lt_u32_e64 s[16:17], s16, v4
	s_waitcnt lgkmcnt(0)
	s_barrier
	s_and_saveexec_b64 s[18:19], s[16:17]
	s_cbranch_execz .LBB2_52
; %bb.51:
	v_add_u32_e32 v4, 0xffffff00, v1
	ds_read_b32 v4, v4
	s_waitcnt lgkmcnt(0)
	v_add_u32_e32 v3, v4, v3
.LBB2_52:
	s_or_b64 exec, exec, s[18:19]
	s_barrier
	s_and_saveexec_b64 s[18:19], vcc
; %bb.53:
	ds_write_b32 v1, v3
; %bb.54:
	s_or_b64 exec, exec, s[18:19]
	v_and_b32_e32 v0, 0x380, v0
	s_movk_i32 s18, 0x80
	v_cmp_eq_u32_e64 s[18:19], s18, v0
	s_waitcnt lgkmcnt(0)
	s_barrier
	s_and_saveexec_b64 s[20:21], s[18:19]
	s_cbranch_execz .LBB2_56
; %bb.55:
	v_add_u32_e32 v0, 0xfffffe00, v1
	ds_read_b32 v0, v0
	s_waitcnt lgkmcnt(0)
	v_add_u32_e32 v3, v0, v3
.LBB2_56:
	s_or_b64 exec, exec, s[20:21]
	s_barrier
	s_and_saveexec_b64 s[20:21], vcc
; %bb.57:
	ds_write_b32 v1, v3
; %bb.58:
	s_or_b64 exec, exec, s[20:21]
	s_waitcnt lgkmcnt(0)
	s_barrier
	s_barrier
	s_and_saveexec_b64 s[20:21], vcc
; %bb.59:
	v_sub_u32_e32 v0, v3, v2
	ds_write_b32 v1, v0
; %bb.60:
	s_or_b64 exec, exec, s[20:21]
	v_mov_b32_e32 v0, 0
	s_waitcnt lgkmcnt(0)
	s_barrier
	s_and_saveexec_b64 s[20:21], vcc
; %bb.61:
	ds_read_b32 v0, v1 offset:1024
; %bb.62:
	s_or_b64 exec, exec, s[20:21]
	s_waitcnt lgkmcnt(0)
	v_mov_b32_e32 v2, v0
	s_and_saveexec_b64 s[20:21], s[4:5]
	s_cbranch_execz .LBB2_64
; %bb.63:
	ds_read_b32 v2, v1 offset:1020
	s_waitcnt lgkmcnt(0)
	v_add_u32_e32 v2, v2, v0
.LBB2_64:
	s_or_b64 exec, exec, s[20:21]
	s_barrier
	s_and_saveexec_b64 s[20:21], vcc
; %bb.65:
	ds_write_b32 v1, v2 offset:1024
; %bb.66:
	s_or_b64 exec, exec, s[20:21]
	s_waitcnt lgkmcnt(0)
	s_barrier
	s_and_saveexec_b64 s[20:21], s[6:7]
	s_cbranch_execz .LBB2_68
; %bb.67:
	ds_read_b32 v3, v1 offset:1016
	s_waitcnt lgkmcnt(0)
	v_add_u32_e32 v2, v3, v2
.LBB2_68:
	s_or_b64 exec, exec, s[20:21]
	s_barrier
	s_and_saveexec_b64 s[20:21], vcc
; %bb.69:
	ds_write_b32 v1, v2 offset:1024
; %bb.70:
	s_or_b64 exec, exec, s[20:21]
	s_waitcnt lgkmcnt(0)
	s_barrier
	;; [unrolled: 16-line block ×8, first 2 shown]
	s_barrier
	s_and_saveexec_b64 s[20:21], vcc
; %bb.95:
	v_sub_u32_e32 v0, v2, v0
	ds_write_b32 v1, v0 offset:1024
; %bb.96:
	s_or_b64 exec, exec, s[20:21]
	v_mov_b32_e32 v0, 0
	s_waitcnt lgkmcnt(0)
	s_barrier
	s_and_saveexec_b64 s[20:21], vcc
; %bb.97:
	ds_read_b32 v0, v1 offset:2048
; %bb.98:
	s_or_b64 exec, exec, s[20:21]
	s_waitcnt lgkmcnt(0)
	v_mov_b32_e32 v2, v0
	s_and_saveexec_b64 s[20:21], s[4:5]
	s_cbranch_execz .LBB2_100
; %bb.99:
	ds_read_b32 v2, v1 offset:2044
	s_waitcnt lgkmcnt(0)
	v_add_u32_e32 v2, v2, v0
.LBB2_100:
	s_or_b64 exec, exec, s[20:21]
	s_barrier
	s_and_saveexec_b64 s[20:21], vcc
; %bb.101:
	ds_write_b32 v1, v2 offset:2048
; %bb.102:
	s_or_b64 exec, exec, s[20:21]
	s_waitcnt lgkmcnt(0)
	s_barrier
	s_and_saveexec_b64 s[20:21], s[6:7]
	s_cbranch_execz .LBB2_104
; %bb.103:
	ds_read_b32 v3, v1 offset:2040
	s_waitcnt lgkmcnt(0)
	v_add_u32_e32 v2, v3, v2
.LBB2_104:
	s_or_b64 exec, exec, s[20:21]
	s_barrier
	s_and_saveexec_b64 s[20:21], vcc
; %bb.105:
	ds_write_b32 v1, v2 offset:2048
; %bb.106:
	s_or_b64 exec, exec, s[20:21]
	s_waitcnt lgkmcnt(0)
	s_barrier
	;; [unrolled: 16-line block ×8, first 2 shown]
	s_barrier
	s_and_saveexec_b64 s[20:21], vcc
; %bb.131:
	v_sub_u32_e32 v0, v2, v0
	ds_write_b32 v1, v0 offset:2048
; %bb.132:
	s_or_b64 exec, exec, s[20:21]
	v_mov_b32_e32 v0, 0
	s_waitcnt lgkmcnt(0)
	s_barrier
	s_and_saveexec_b64 s[20:21], vcc
; %bb.133:
	ds_read_b32 v0, v1 offset:3072
; %bb.134:
	s_or_b64 exec, exec, s[20:21]
	s_waitcnt lgkmcnt(0)
	v_mov_b32_e32 v2, v0
	s_and_saveexec_b64 s[20:21], s[4:5]
	s_cbranch_execz .LBB2_136
; %bb.135:
	ds_read_b32 v2, v1 offset:3068
	s_waitcnt lgkmcnt(0)
	v_add_u32_e32 v2, v2, v0
.LBB2_136:
	s_or_b64 exec, exec, s[20:21]
	s_barrier
	s_and_saveexec_b64 s[4:5], vcc
; %bb.137:
	ds_write_b32 v1, v2 offset:3072
; %bb.138:
	s_or_b64 exec, exec, s[4:5]
	s_waitcnt lgkmcnt(0)
	s_barrier
	s_and_saveexec_b64 s[4:5], s[6:7]
	s_cbranch_execz .LBB2_140
; %bb.139:
	ds_read_b32 v3, v1 offset:3064
	s_waitcnt lgkmcnt(0)
	v_add_u32_e32 v2, v3, v2
.LBB2_140:
	s_or_b64 exec, exec, s[4:5]
	s_barrier
	s_and_saveexec_b64 s[4:5], vcc
; %bb.141:
	ds_write_b32 v1, v2 offset:3072
; %bb.142:
	s_or_b64 exec, exec, s[4:5]
	s_waitcnt lgkmcnt(0)
	s_barrier
	;; [unrolled: 16-line block ×8, first 2 shown]
	s_barrier
	s_and_saveexec_b64 s[4:5], vcc
; %bb.167:
	v_sub_u32_e32 v0, v2, v0
	ds_write_b32 v1, v0 offset:3072
; %bb.168:
	s_or_b64 exec, exec, s[4:5]
	s_waitcnt lgkmcnt(0)
	s_barrier
	s_and_saveexec_b64 s[4:5], s[2:3]
	s_cbranch_execz .LBB2_170
; %bb.169:
	s_load_dwordx2 s[0:1], s[0:1], 0x10
	ds_read_b32 v0, v1
	s_waitcnt lgkmcnt(0)
	global_atomic_add v1, v0, s[0:1]
	ds_read_b32 v0, v1 offset:1024
	s_waitcnt lgkmcnt(0)
	global_atomic_add v1, v0, s[0:1] offset:1024
	ds_read_b32 v0, v1 offset:2048
	s_waitcnt lgkmcnt(0)
	global_atomic_add v1, v0, s[0:1] offset:2048
	ds_read_b32 v0, v1 offset:3072
	s_waitcnt lgkmcnt(0)
	global_atomic_add v1, v0, s[0:1] offset:3072
.LBB2_170:
	s_endpgm
	.section	.rodata,"a",@progbits
	.p2align	6, 0x0
	.amdhsa_kernel GHistogram
		.amdhsa_group_segment_fixed_size 4100
		.amdhsa_private_segment_fixed_size 0
		.amdhsa_kernarg_size 40
		.amdhsa_user_sgpr_count 2
		.amdhsa_user_sgpr_dispatch_ptr 0
		.amdhsa_user_sgpr_queue_ptr 0
		.amdhsa_user_sgpr_kernarg_segment_ptr 1
		.amdhsa_user_sgpr_dispatch_id 0
		.amdhsa_user_sgpr_kernarg_preload_length 0
		.amdhsa_user_sgpr_kernarg_preload_offset 0
		.amdhsa_user_sgpr_private_segment_size 0
		.amdhsa_uses_dynamic_stack 0
		.amdhsa_enable_private_segment 0
		.amdhsa_system_sgpr_workgroup_id_x 1
		.amdhsa_system_sgpr_workgroup_id_y 0
		.amdhsa_system_sgpr_workgroup_id_z 0
		.amdhsa_system_sgpr_workgroup_info 0
		.amdhsa_system_vgpr_workitem_id 0
		.amdhsa_next_free_vgpr 10
		.amdhsa_next_free_sgpr 22
		.amdhsa_accum_offset 12
		.amdhsa_reserve_vcc 1
		.amdhsa_float_round_mode_32 0
		.amdhsa_float_round_mode_16_64 0
		.amdhsa_float_denorm_mode_32 3
		.amdhsa_float_denorm_mode_16_64 3
		.amdhsa_dx10_clamp 1
		.amdhsa_ieee_mode 1
		.amdhsa_fp16_overflow 0
		.amdhsa_tg_split 0
		.amdhsa_exception_fp_ieee_invalid_op 0
		.amdhsa_exception_fp_denorm_src 0
		.amdhsa_exception_fp_ieee_div_zero 0
		.amdhsa_exception_fp_ieee_overflow 0
		.amdhsa_exception_fp_ieee_underflow 0
		.amdhsa_exception_fp_ieee_inexact 0
		.amdhsa_exception_int_div_zero 0
	.end_amdhsa_kernel
	.text
.Lfunc_end2:
	.size	GHistogram, .Lfunc_end2-GHistogram
                                        ; -- End function
	.set GHistogram.num_vgpr, 10
	.set GHistogram.num_agpr, 0
	.set GHistogram.numbered_sgpr, 22
	.set GHistogram.num_named_barrier, 0
	.set GHistogram.private_seg_size, 0
	.set GHistogram.uses_vcc, 1
	.set GHistogram.uses_flat_scratch, 0
	.set GHistogram.has_dyn_sized_stack, 0
	.set GHistogram.has_recursion, 0
	.set GHistogram.has_indirect_call, 0
	.section	.AMDGPU.csdata,"",@progbits
; Kernel info:
; codeLenInByte = 3480
; TotalNumSgprs: 28
; NumVgprs: 10
; NumAgprs: 0
; TotalNumVgprs: 10
; ScratchSize: 0
; MemoryBound: 0
; FloatMode: 240
; IeeeMode: 1
; LDSByteSize: 4100 bytes/workgroup (compile time only)
; SGPRBlocks: 3
; VGPRBlocks: 1
; NumSGPRsForWavesPerEU: 28
; NumVGPRsForWavesPerEU: 10
; AccumOffset: 12
; Occupancy: 8
; WaveLimiterHint : 1
; COMPUTE_PGM_RSRC2:SCRATCH_EN: 0
; COMPUTE_PGM_RSRC2:USER_SGPR: 2
; COMPUTE_PGM_RSRC2:TRAP_HANDLER: 0
; COMPUTE_PGM_RSRC2:TGID_X_EN: 1
; COMPUTE_PGM_RSRC2:TGID_Y_EN: 0
; COMPUTE_PGM_RSRC2:TGID_Z_EN: 0
; COMPUTE_PGM_RSRC2:TIDIG_COMP_CNT: 0
; COMPUTE_PGM_RSRC3_GFX90A:ACCUM_OFFSET: 2
; COMPUTE_PGM_RSRC3_GFX90A:TG_SPLIT: 0
	.text
	.protected	OnesweepReorderKey64    ; -- Begin function OnesweepReorderKey64
	.globl	OnesweepReorderKey64
	.p2align	8
	.type	OnesweepReorderKey64,@function
OnesweepReorderKey64:                   ; @OnesweepReorderKey64
; %bb.0:
	s_load_dwordx4 s[8:11], s[0:1], 0x0
	s_load_dword s20, s[0:1], 0x10
	v_lshrrev_b32_e32 v18, 5, v0
	s_lshl_b32 s21, s2, 12
	v_and_b32_e32 v44, 31, v0
	v_lshl_or_b32 v1, v18, 9, s21
	v_mov_b32_e32 v2, 0
	v_or_b32_e32 v34, v1, v44
	v_lshlrev_b32_e32 v45, 1, v0
	s_waitcnt lgkmcnt(0)
	v_cmp_gt_u32_e32 vcc, s20, v34
	v_mov_b32_e32 v3, v2
	v_mov_b32_e32 v4, v2
	;; [unrolled: 1-line block ×15, first 2 shown]
	ds_write_b16 v45, v2 offset:512
	ds_write_b16 v45, v2 offset:1024
	;; [unrolled: 1-line block ×8, first 2 shown]
	s_waitcnt lgkmcnt(0)
	s_barrier
	s_and_saveexec_b64 s[4:5], vcc
	s_cbranch_execz .LBB3_2
; %bb.1:
	v_mov_b32_e32 v35, v2
	v_lshl_add_u64 v[4:5], v[34:35], 2, s[8:9]
	global_load_dword v46, v[4:5], off
	v_mov_b32_e32 v47, v2
	v_mov_b32_e32 v48, v2
	;; [unrolled: 1-line block ×15, first 2 shown]
	s_waitcnt vmcnt(0)
	v_mov_b64_e32 v[2:3], v[46:47]
	v_mov_b64_e32 v[4:5], v[48:49]
	;; [unrolled: 1-line block ×8, first 2 shown]
.LBB3_2:
	s_or_b64 exec, exec, s[4:5]
	v_or_b32_e32 v19, 32, v34
	v_cmp_gt_u32_e32 vcc, s20, v19
	s_and_saveexec_b64 s[4:5], vcc
	s_cbranch_execz .LBB3_4
; %bb.3:
	v_mov_b32_e32 v35, 0
	v_lshl_add_u64 v[20:21], v[34:35], 2, s[8:9]
	global_load_dword v3, v[20:21], off offset:128
.LBB3_4:
	s_or_b64 exec, exec, s[4:5]
	v_or_b32_e32 v19, 64, v34
	v_cmp_gt_u32_e32 vcc, s20, v19
	s_and_saveexec_b64 s[4:5], vcc
	s_cbranch_execz .LBB3_6
; %bb.5:
	v_mov_b32_e32 v35, 0
	v_lshl_add_u64 v[20:21], v[34:35], 2, s[8:9]
	global_load_dword v4, v[20:21], off offset:256
.LBB3_6:
	s_or_b64 exec, exec, s[4:5]
	v_or_b32_e32 v19, 0x60, v34
	v_cmp_gt_u32_e32 vcc, s20, v19
	s_and_saveexec_b64 s[4:5], vcc
	s_cbranch_execz .LBB3_8
; %bb.7:
	v_mov_b32_e32 v35, 0
	v_lshl_add_u64 v[20:21], v[34:35], 2, s[8:9]
	global_load_dword v5, v[20:21], off offset:384
.LBB3_8:
	s_or_b64 exec, exec, s[4:5]
	v_or_b32_e32 v19, 0x80, v34
	v_cmp_gt_u32_e32 vcc, s20, v19
	s_and_saveexec_b64 s[4:5], vcc
	s_cbranch_execz .LBB3_10
; %bb.9:
	v_mov_b32_e32 v35, 0
	v_lshl_add_u64 v[20:21], v[34:35], 2, s[8:9]
	global_load_dword v6, v[20:21], off offset:512
.LBB3_10:
	s_or_b64 exec, exec, s[4:5]
	v_or_b32_e32 v19, 0xa0, v34
	v_cmp_gt_u32_e32 vcc, s20, v19
	s_and_saveexec_b64 s[4:5], vcc
	s_cbranch_execz .LBB3_12
; %bb.11:
	v_mov_b32_e32 v35, 0
	v_lshl_add_u64 v[20:21], v[34:35], 2, s[8:9]
	global_load_dword v7, v[20:21], off offset:640
.LBB3_12:
	s_or_b64 exec, exec, s[4:5]
	v_or_b32_e32 v19, 0xc0, v34
	v_cmp_gt_u32_e32 vcc, s20, v19
	s_and_saveexec_b64 s[4:5], vcc
	s_cbranch_execz .LBB3_14
; %bb.13:
	v_mov_b32_e32 v35, 0
	v_lshl_add_u64 v[20:21], v[34:35], 2, s[8:9]
	global_load_dword v8, v[20:21], off offset:768
.LBB3_14:
	s_or_b64 exec, exec, s[4:5]
	v_or_b32_e32 v19, 0xe0, v34
	v_cmp_gt_u32_e32 vcc, s20, v19
	s_and_saveexec_b64 s[4:5], vcc
	s_cbranch_execz .LBB3_16
; %bb.15:
	v_mov_b32_e32 v35, 0
	v_lshl_add_u64 v[20:21], v[34:35], 2, s[8:9]
	global_load_dword v9, v[20:21], off offset:896
.LBB3_16:
	s_or_b64 exec, exec, s[4:5]
	v_or_b32_e32 v19, 0x100, v34
	v_cmp_gt_u32_e32 vcc, s20, v19
	s_and_saveexec_b64 s[4:5], vcc
	s_cbranch_execz .LBB3_18
; %bb.17:
	v_mov_b32_e32 v35, 0
	v_lshl_add_u64 v[20:21], v[34:35], 2, s[8:9]
	global_load_dword v10, v[20:21], off offset:1024
.LBB3_18:
	s_or_b64 exec, exec, s[4:5]
	v_or_b32_e32 v19, 0x120, v34
	v_cmp_gt_u32_e32 vcc, s20, v19
	s_and_saveexec_b64 s[4:5], vcc
	s_cbranch_execz .LBB3_20
; %bb.19:
	v_mov_b32_e32 v35, 0
	v_lshl_add_u64 v[20:21], v[34:35], 2, s[8:9]
	global_load_dword v11, v[20:21], off offset:1152
.LBB3_20:
	s_or_b64 exec, exec, s[4:5]
	v_or_b32_e32 v19, 0x140, v34
	v_cmp_gt_u32_e32 vcc, s20, v19
	s_and_saveexec_b64 s[4:5], vcc
	s_cbranch_execz .LBB3_22
; %bb.21:
	v_mov_b32_e32 v35, 0
	v_lshl_add_u64 v[20:21], v[34:35], 2, s[8:9]
	global_load_dword v12, v[20:21], off offset:1280
.LBB3_22:
	s_or_b64 exec, exec, s[4:5]
	v_or_b32_e32 v19, 0x160, v34
	v_cmp_gt_u32_e32 vcc, s20, v19
	s_and_saveexec_b64 s[4:5], vcc
	s_cbranch_execz .LBB3_24
; %bb.23:
	v_mov_b32_e32 v35, 0
	v_lshl_add_u64 v[20:21], v[34:35], 2, s[8:9]
	global_load_dword v13, v[20:21], off offset:1408
.LBB3_24:
	s_or_b64 exec, exec, s[4:5]
	v_or_b32_e32 v19, 0x180, v34
	v_cmp_gt_u32_e32 vcc, s20, v19
	s_and_saveexec_b64 s[4:5], vcc
	s_cbranch_execz .LBB3_26
; %bb.25:
	v_mov_b32_e32 v35, 0
	v_lshl_add_u64 v[20:21], v[34:35], 2, s[8:9]
	global_load_dword v14, v[20:21], off offset:1536
.LBB3_26:
	s_or_b64 exec, exec, s[4:5]
	v_or_b32_e32 v19, 0x1a0, v34
	v_cmp_gt_u32_e32 vcc, s20, v19
	s_and_saveexec_b64 s[4:5], vcc
	s_cbranch_execz .LBB3_28
; %bb.27:
	v_mov_b32_e32 v35, 0
	v_lshl_add_u64 v[20:21], v[34:35], 2, s[8:9]
	global_load_dword v15, v[20:21], off offset:1664
.LBB3_28:
	s_or_b64 exec, exec, s[4:5]
	v_or_b32_e32 v19, 0x1c0, v34
	v_cmp_gt_u32_e32 vcc, s20, v19
	s_and_saveexec_b64 s[4:5], vcc
	s_cbranch_execz .LBB3_30
; %bb.29:
	v_mov_b32_e32 v35, 0
	v_lshl_add_u64 v[20:21], v[34:35], 2, s[8:9]
	global_load_dword v16, v[20:21], off offset:1792
.LBB3_30:
	s_or_b64 exec, exec, s[4:5]
	v_or_b32_e32 v19, 0x1e0, v34
	v_cmp_gt_u32_e32 vcc, s20, v19
	s_and_saveexec_b64 s[4:5], vcc
	s_cbranch_execz .LBB3_32
; %bb.31:
	v_mov_b32_e32 v35, 0
	v_lshl_add_u64 v[20:21], v[34:35], 2, s[8:9]
	global_load_dword v17, v[20:21], off offset:1920
.LBB3_32:
	s_or_b64 exec, exec, s[4:5]
	s_load_dwordx2 s[16:17], s[0:1], 0x30
	v_lshlrev_b32_e64 v19, v44, -1
	v_lshlrev_b32_e32 v46, 1, v18
	v_mov_b32_e32 v18, 0
	v_not_b32_e32 v35, v19
	s_waitcnt lgkmcnt(0)
	s_lshl_b32 s22, s17, 3
	s_add_i32 s22, s22, s16
	s_mov_b64 s[12:13], 0
	s_movk_i32 s3, 0x7f
	v_mov_b32_e32 v19, v18
	v_mov_b32_e32 v20, v18
	;; [unrolled: 1-line block ×15, first 2 shown]
	s_branch .LBB3_34
.LBB3_33:                               ;   in Loop: Header=BB3_34 Depth=1
	s_or_b64 exec, exec, s[6:7]
	v_mov_b32_e32 v48, s4
	v_bitop3_b32 v36, v36, vcc_lo, v48 bitop3:0x48
	v_bitop3_b32 v36, v36, v38, v37 bitop3:0x80
	v_bitop3_b32 v36, v36, v41, v39 bitop3:0x80
	;; [unrolled: 1-line block ×4, first 2 shown]
	v_bcnt_u32_b32 v36, v36, 0
	v_add_u32_sdwa v36, v36, v40 dst_sel:DWORD dst_unused:UNUSED_PAD src0_sel:DWORD src1_sel:WORD_0
	s_set_gpr_idx_on s12, gpr_idx(DST)
	v_mov_b32_e32 v18, v36
	s_set_gpr_idx_off
	s_add_u32 s12, s12, 1
	s_addc_u32 s13, s13, 0
	s_cmp_eq_u32 s12, 16
	v_add_u32_e32 v34, 32, v34
	s_waitcnt lgkmcnt(0)
	s_barrier
	s_cbranch_scc1 .LBB3_36
.LBB3_34:                               ; =>This Inner Loop Header: Depth=1
	s_waitcnt vmcnt(0)
	s_set_gpr_idx_on s12, gpr_idx(SRC0)
	v_mov_b32_e32 v36, v2
	s_set_gpr_idx_off
	v_lshrrev_b32_e32 v40, s22, v36
	v_bfe_u32 v49, v36, s22, 8
	v_bfe_u32 v36, v36, s22, 1
	v_add_co_u32_e64 v36, s[4:5], -1, v36
	v_cmp_gt_u32_e32 vcc, s20, v34
	s_nop 0
	v_cndmask_b32_e64 v37, 0, 1, s[4:5]
	v_cmp_ne_u32_e64 s[4:5], 0, v37
	v_bfe_u32 v37, v40, 1, 1
	v_add_co_u32_e64 v37, s[6:7], -1, v37
	v_xor_b32_e32 v38, s4, v36
	s_nop 0
	v_cndmask_b32_e64 v39, 0, 1, s[6:7]
	v_cmp_ne_u32_e64 s[6:7], 0, v39
	s_nop 1
	v_xor_b32_e32 v37, s6, v37
	v_bitop3_b32 v41, v38, v37, vcc_lo bitop3:0x80
	v_bfe_u32 v38, v40, 2, 1
	v_add_co_u32_e64 v38, s[6:7], -1, v38
	s_nop 1
	v_cndmask_b32_e64 v39, 0, 1, s[6:7]
	v_cmp_ne_u32_e64 s[6:7], 0, v39
	v_bfe_u32 v39, v40, 3, 1
	s_nop 0
	v_xor_b32_e32 v38, s6, v38
	v_add_co_u32_e64 v39, s[6:7], -1, v39
	s_nop 1
	v_cndmask_b32_e64 v42, 0, 1, s[6:7]
	v_cmp_ne_u32_e64 s[6:7], 0, v42
	s_nop 1
	v_xor_b32_e32 v39, s6, v39
	v_bitop3_b32 v43, v41, v39, v38 bitop3:0x80
	v_bfe_u32 v41, v40, 4, 1
	v_add_co_u32_e64 v41, s[6:7], -1, v41
	s_nop 1
	v_cndmask_b32_e64 v42, 0, 1, s[6:7]
	v_cmp_ne_u32_e64 s[6:7], 0, v42
	v_bfe_u32 v42, v40, 5, 1
	s_nop 0
	v_xor_b32_e32 v41, s6, v41
	v_add_co_u32_e64 v42, s[6:7], -1, v42
	s_nop 1
	v_cndmask_b32_e64 v47, 0, 1, s[6:7]
	v_cmp_ne_u32_e64 s[6:7], 0, v47
	s_nop 1
	v_xor_b32_e32 v42, s6, v42
	v_bitop3_b32 v48, v43, v42, v41 bitop3:0x80
	v_bfe_u32 v43, v40, 6, 1
	v_add_co_u32_e64 v43, s[6:7], -1, v43
	v_bfe_u32 v40, v40, 7, 1
	s_nop 0
	v_cndmask_b32_e64 v47, 0, 1, s[6:7]
	v_cmp_ne_u32_e64 s[6:7], 0, v47
	v_add_u32_e32 v40, -1, v40
	s_nop 0
	v_xor_b32_e32 v43, s6, v43
	v_cmp_lt_u32_e64 s[6:7], s3, v49
	v_lshlrev_b32_e32 v49, 4, v49
	s_nop 0
	v_xor_b32_e32 v47, s6, v40
	v_or_b32_e32 v40, v46, v49
	ds_read_u16 v40, v40 offset:512
	v_bitop3_b32 v48, v48, v47, v43 bitop3:0x80
	v_ffbl_b32_e32 v50, v48
	v_cmp_ne_u32_e64 s[6:7], 0, v48
	v_cmp_eq_u32_e64 s[8:9], v50, v44
	s_and_b64 s[8:9], s[6:7], s[8:9]
	s_waitcnt lgkmcnt(0)
	s_barrier
	s_and_saveexec_b64 s[6:7], s[8:9]
	s_cbranch_execz .LBB3_33
; %bb.35:                               ;   in Loop: Header=BB3_34 Depth=1
	v_bcnt_u32_b32 v48, v48, v40
	v_add_u32_e32 v49, v46, v49
	ds_write_b16 v49, v48 offset:512
	s_branch .LBB3_33
.LBB3_36:
	s_movk_i32 s3, 0x100
	v_cmp_gt_u32_e32 vcc, s3, v0
	s_barrier
	s_and_saveexec_b64 s[4:5], vcc
	s_cbranch_execz .LBB3_38
; %bb.37:
	v_lshlrev_b32_e32 v38, 4, v0
	ds_read2_b32 v[34:35], v38 offset0:128 offset1:129
	ds_read2_b32 v[36:37], v38 offset0:130 offset1:131
	s_waitcnt lgkmcnt(0)
	v_pk_add_u16 v35, v35, v37
	v_pk_add_u16 v34, v34, v36
	s_nop 0
	v_pk_add_u16 v34, v34, v35
	v_mad_i32_i24 v35, v0, -14, v38
	v_add_u16_sdwa v34, v34, v34 dst_sel:DWORD dst_unused:UNUSED_PAD src0_sel:DWORD src1_sel:WORD_1
	ds_write_b16 v35, v34
.LBB3_38:
	s_or_b64 exec, exec, s[4:5]
	s_load_dwordx4 s[12:15], s[0:1], 0x18
	s_load_dwordx2 s[8:9], s[0:1], 0x28
	s_cmpk_gt_u32 s2, 0x3ff
	v_cmp_eq_u32_e64 s[0:1], 0, v0
	s_cselect_b64 s[4:5], -1, 0
	s_and_b64 s[4:5], s[0:1], s[4:5]
	s_and_saveexec_b64 s[6:7], s[4:5]
	s_cbranch_execz .LBB3_43
; %bb.39:
	v_mov_b32_e32 v34, 0
	s_branch .LBB3_41
.LBB3_40:                               ;   in Loop: Header=BB3_41 Depth=1
	s_or_b64 exec, exec, s[18:19]
	s_waitcnt vmcnt(0)
	v_readfirstlane_b32 s3, v35
	s_andn2_b32 s3, s3, 31
	s_addk_i32 s3, 0x3c0
	s_cmp_le_u32 s3, s2
	s_cbranch_scc0 .LBB3_43
.LBB3_41:                               ; =>This Inner Loop Header: Depth=1
	v_mbcnt_lo_u32_b32 v35, exec_lo, 0
	v_mbcnt_hi_u32_b32 v35, exec_hi, v35
	v_cmp_eq_u32_e64 s[4:5], 0, v35
                                        ; implicit-def: $vgpr35
	s_and_saveexec_b64 s[18:19], s[4:5]
	s_cbranch_execz .LBB3_40
; %bb.42:                               ;   in Loop: Header=BB3_41 Depth=1
	s_waitcnt lgkmcnt(0)
	global_load_dword v35, v34, s[8:9] sc1
	s_branch .LBB3_40
.LBB3_43:
	s_or_b64 exec, exec, s[6:7]
	s_waitcnt lgkmcnt(0)
	s_barrier
	s_and_saveexec_b64 s[18:19], vcc
	s_cbranch_execz .LBB3_51
; %bb.44:
	s_lshl_b32 s3, s2, 8
	ds_read_u16 v34, v45
	s_and_b32 s4, s3, 0x3ff00
	s_and_b32 s3, s2, 0x3fffffff
	v_or_b32_e32 v36, s4, v0
	s_or_b32 s5, s3, 2.0
	v_lshlrev_b32_e32 v38, 3, v36
	v_mov_b32_e32 v39, 0
	v_mov_b32_e32 v40, s12
	;; [unrolled: 1-line block ×4, first 2 shown]
	v_lshl_add_u64 v[36:37], s[14:15], 0, v[38:39]
	v_lshl_or_b32 v38, s17, 8, v0
	s_waitcnt lgkmcnt(0)
	flat_store_dwordx2 v[36:37], v[34:35] sc0 sc1
	s_waitcnt vmcnt(0)
	v_lshl_add_u64 v[40:41], v[38:39], 2, v[40:41]
	global_load_dword v35, v[40:41], off
	s_mov_b64 s[12:13], 0
	s_mov_b32 s23, s2
	v_mov_b32_e32 v47, 0
                                        ; implicit-def: $sgpr4_sgpr5
	s_branch .LBB3_46
.LBB3_45:                               ;   in Loop: Header=BB3_46 Depth=1
                                        ; implicit-def: $sgpr23
	s_and_b64 s[6:7], exec, s[4:5]
	s_or_b64 s[12:13], s[6:7], s[12:13]
	s_andn2_b64 exec, exec, s[12:13]
	s_cbranch_execz .LBB3_50
.LBB3_46:                               ; =>This Loop Header: Depth=1
                                        ;     Child Loop BB3_48 Depth 2
	s_or_b64 s[4:5], s[4:5], exec
	s_cmp_lt_i32 s23, 1
	s_cbranch_scc1 .LBB3_45
; %bb.47:                               ;   in Loop: Header=BB3_46 Depth=1
	s_add_i32 s23, s23, -1
	s_lshl_b32 s4, s23, 8
	s_and_b32 s4, s4, 0x3ff00
	v_or_b32_e32 v38, s4, v0
	s_sub_i32 s4, s2, s23
	s_cmp_eq_u32 s4, 64
	v_lshlrev_b32_e32 v38, 3, v38
	s_cselect_b32 s24, 2, 3
	v_lshl_add_u64 v[40:41], s[14:15], 0, v[38:39]
	s_mov_b64 s[16:17], 0
.LBB3_48:                               ;   Parent Loop BB3_46 Depth=1
                                        ; =>  This Inner Loop Header: Depth=2
	flat_load_dwordx2 v[42:43], v[40:41] sc0 sc1
	s_waitcnt vmcnt(0) lgkmcnt(0)
	v_lshrrev_b32_e32 v38, 30, v43
	v_and_b32_e32 v43, 0x3fffffff, v43
	v_and_b32_e32 v48, s24, v38
	v_cmp_ne_u32_e64 s[4:5], 0, v48
	v_cmp_eq_u32_e64 s[6:7], s23, v43
	s_and_b64 s[4:5], s[4:5], s[6:7]
	s_and_b64 s[4:5], exec, s[4:5]
	s_or_b64 s[16:17], s[4:5], s[16:17]
	s_andn2_b64 exec, exec, s[16:17]
	s_cbranch_execnz .LBB3_48
; %bb.49:                               ;   in Loop: Header=BB3_46 Depth=1
	s_or_b64 exec, exec, s[16:17]
	v_add_u32_e32 v47, v47, v42
	v_cmp_eq_u32_e64 s[4:5], 2, v38
	s_and_b64 s[6:7], exec, s[4:5]
	s_or_b64 s[12:13], s[6:7], s[12:13]
	s_andn2_b64 exec, exec, s[12:13]
	s_cbranch_execnz .LBB3_46
.LBB3_50:
	s_or_b64 exec, exec, s[12:13]
	s_bitset1_b32 s3, 31
	v_add_u32_e32 v38, v47, v34
	v_mov_b32_e32 v39, s3
	s_waitcnt vmcnt(0)
	v_add_u32_e32 v34, v47, v35
	v_lshlrev_b32_e32 v35, 2, v0
	flat_store_dwordx2 v[36:37], v[38:39] sc0 sc1
	s_waitcnt vmcnt(0)
	ds_write_b32 v35, v34 offset:20480
.LBB3_51:
	s_or_b64 exec, exec, s[18:19]
; %bb.52:
	s_waitcnt lgkmcnt(0)
	s_barrier
	s_and_saveexec_b64 s[4:5], s[0:1]
	s_cbranch_execz .LBB3_58
; %bb.53:
	v_mov_b32_e32 v34, 0
	s_branch .LBB3_55
.LBB3_54:                               ;   in Loop: Header=BB3_55 Depth=1
	s_or_b64 exec, exec, s[6:7]
	s_waitcnt vmcnt(0)
	v_readfirstlane_b32 s0, v35
	s_xor_b32 s0, s0, s2
	s_cmp_gt_u32 s0, 31
	s_cbranch_scc0 .LBB3_57
.LBB3_55:                               ; =>This Inner Loop Header: Depth=1
	v_mbcnt_lo_u32_b32 v35, exec_lo, 0
	v_mbcnt_hi_u32_b32 v35, exec_hi, v35
	v_cmp_eq_u32_e64 s[0:1], 0, v35
                                        ; implicit-def: $vgpr35
	s_and_saveexec_b64 s[6:7], s[0:1]
	s_cbranch_execz .LBB3_54
; %bb.56:                               ;   in Loop: Header=BB3_55 Depth=1
	global_load_dword v35, v34, s[8:9] sc1
	s_branch .LBB3_54
.LBB3_57:
	s_add_i32 s0, s20, 0xfff
	s_lshr_b32 s0, s0, 12
	s_add_i32 s0, s0, -1
	v_mov_b32_e32 v34, 0
	v_mov_b32_e32 v35, s0
	global_atomic_inc v34, v35, s[8:9]
.LBB3_58:
	s_or_b64 exec, exec, s[4:5]
	s_movk_i32 s0, 0x100
	v_cmp_gt_u32_e64 s[0:1], s0, v0
	v_mov_b32_e32 v34, 0
	s_barrier
	s_and_saveexec_b64 s[2:3], s[0:1]
; %bb.59:
	ds_read_u16 v34, v45
; %bb.60:
	s_or_b64 exec, exec, s[2:3]
	s_movk_i32 s2, 0xff00
	v_or_b32_e32 v36, 0xffffff00, v0
	v_cmp_lt_u32_e64 s[2:3], s2, v36
	s_waitcnt lgkmcnt(0)
	v_mov_b32_e32 v35, v34
	s_and_saveexec_b64 s[4:5], s[2:3]
	s_cbranch_execz .LBB3_62
; %bb.61:
	v_add_u32_e32 v35, -2, v45
	ds_read_u16 v35, v35
	s_waitcnt lgkmcnt(0)
	v_add_u16_e32 v35, v35, v34
.LBB3_62:
	s_or_b64 exec, exec, s[4:5]
	s_barrier
	s_and_saveexec_b64 s[2:3], s[0:1]
; %bb.63:
	ds_write_b16 v45, v35
; %bb.64:
	s_or_b64 exec, exec, s[2:3]
	s_movk_i32 s2, 0xff01
	v_cmp_lt_u32_e64 s[2:3], s2, v36
	s_waitcnt lgkmcnt(0)
	s_barrier
	s_and_saveexec_b64 s[4:5], s[2:3]
	s_cbranch_execz .LBB3_66
; %bb.65:
	v_add_u32_e32 v37, -4, v45
	ds_read_u16 v37, v37
	s_waitcnt lgkmcnt(0)
	v_add_u16_e32 v35, v37, v35
.LBB3_66:
	s_or_b64 exec, exec, s[4:5]
	s_barrier
	s_and_saveexec_b64 s[2:3], s[0:1]
; %bb.67:
	ds_write_b16 v45, v35
; %bb.68:
	s_or_b64 exec, exec, s[2:3]
	s_movk_i32 s2, 0xff03
	v_cmp_lt_u32_e64 s[2:3], s2, v36
	s_waitcnt lgkmcnt(0)
	s_barrier
	;; [unrolled: 19-line block ×4, first 2 shown]
	s_and_saveexec_b64 s[4:5], s[2:3]
	s_cbranch_execz .LBB3_78
; %bb.77:
	v_subrev_u32_e32 v37, 32, v45
	ds_read_u16 v37, v37
	s_waitcnt lgkmcnt(0)
	v_add_u16_e32 v35, v37, v35
.LBB3_78:
	s_or_b64 exec, exec, s[4:5]
	s_barrier
	s_and_saveexec_b64 s[2:3], s[0:1]
; %bb.79:
	ds_write_b16 v45, v35
; %bb.80:
	s_or_b64 exec, exec, s[2:3]
	s_movk_i32 s2, 0xff1f
	v_cmp_lt_u32_e64 s[2:3], s2, v36
	s_waitcnt lgkmcnt(0)
	s_barrier
	s_and_saveexec_b64 s[4:5], s[2:3]
	s_cbranch_execz .LBB3_82
; %bb.81:
	v_subrev_u32_e32 v37, 64, v45
	ds_read_u16 v37, v37
	s_waitcnt lgkmcnt(0)
	v_add_u16_e32 v35, v37, v35
.LBB3_82:
	s_or_b64 exec, exec, s[4:5]
	s_barrier
	s_and_saveexec_b64 s[2:3], s[0:1]
; %bb.83:
	ds_write_b16 v45, v35
; %bb.84:
	s_or_b64 exec, exec, s[2:3]
	s_movk_i32 s2, 0xff3f
	v_cmp_lt_u32_e64 s[2:3], s2, v36
	s_waitcnt lgkmcnt(0)
	s_barrier
	s_and_saveexec_b64 s[4:5], s[2:3]
	s_cbranch_execz .LBB3_86
; %bb.85:
	v_add_u32_e32 v36, 0xffffff80, v45
	ds_read_u16 v36, v36
	s_waitcnt lgkmcnt(0)
	v_add_u16_e32 v35, v36, v35
.LBB3_86:
	s_or_b64 exec, exec, s[4:5]
	s_barrier
	s_and_saveexec_b64 s[2:3], s[0:1]
; %bb.87:
	ds_write_b16 v45, v35
; %bb.88:
	s_or_b64 exec, exec, s[2:3]
	v_and_b32_e32 v36, 0x80, v0
	v_cmp_ne_u32_e64 s[2:3], 0, v36
	s_waitcnt lgkmcnt(0)
	s_barrier
	s_and_saveexec_b64 s[4:5], s[2:3]
	s_cbranch_execz .LBB3_90
; %bb.89:
	v_add_u32_e32 v36, 0xffffff00, v45
	ds_read_u16 v36, v36
	s_waitcnt lgkmcnt(0)
	v_add_u16_e32 v35, v36, v35
.LBB3_90:
	s_or_b64 exec, exec, s[4:5]
	s_barrier
	s_and_saveexec_b64 s[2:3], s[0:1]
; %bb.91:
	ds_write_b16 v45, v35
; %bb.92:
	s_or_b64 exec, exec, s[2:3]
	s_waitcnt lgkmcnt(0)
	s_barrier
	s_barrier
	s_and_saveexec_b64 s[2:3], s[0:1]
; %bb.93:
	v_sub_u16_e32 v34, v35, v34
	ds_write_b16 v45, v34
; %bb.94:
	s_or_b64 exec, exec, s[2:3]
	v_lshlrev_b32_e32 v34, 2, v0
	s_waitcnt lgkmcnt(0)
	s_barrier
	s_and_saveexec_b64 s[0:1], vcc
	s_cbranch_execz .LBB3_96
; %bb.95:
	v_lshlrev_b32_e32 v35, 2, v0
	ds_read_u16 v38, v45
	ds_read_b32 v39, v35 offset:20480
	v_mad_u32_u24 v40, v0, 14, v45
	ds_read2_b32 v[36:37], v40 offset0:128 offset1:129
	ds_read_b32 v41, v40 offset:520
	ds_read_u16 v42, v40 offset:524
	s_mov_b32 s2, 0x5040100
	s_waitcnt lgkmcnt(3)
	v_sub_u32_sdwa v39, v39, v38 dst_sel:DWORD dst_unused:UNUSED_PAD src0_sel:DWORD src1_sel:WORD_0
	ds_write_b32 v35, v39 offset:20480
	ds_write_b16 v40, v38 offset:512
	s_waitcnt lgkmcnt(4)
	v_add_u32_sdwa v35, v36, v38 dst_sel:DWORD dst_unused:UNUSED_PAD src0_sel:WORD_0 src1_sel:WORD_0
	v_add_u32_sdwa v36, v35, v36 dst_sel:DWORD dst_unused:UNUSED_PAD src0_sel:DWORD src1_sel:WORD_1
	v_add_u32_sdwa v38, v36, v37 dst_sel:DWORD dst_unused:UNUSED_PAD src0_sel:DWORD src1_sel:WORD_0
	v_add_u32_sdwa v37, v38, v37 dst_sel:DWORD dst_unused:UNUSED_PAD src0_sel:DWORD src1_sel:WORD_1
	s_waitcnt lgkmcnt(3)
	v_add_u16_e32 v39, v41, v37
	v_add_u16_sdwa v41, v41, v39 dst_sel:DWORD dst_unused:UNUSED_PAD src0_sel:WORD_1 src1_sel:DWORD
	v_perm_b32 v37, v37, v38, s2
	v_perm_b32 v38, v41, v39, s2
	;; [unrolled: 1-line block ×3, first 2 shown]
	s_waitcnt lgkmcnt(2)
	v_add_u16_e32 v35, v42, v41
	ds_write_b96 v40, v[36:38] offset:514
	ds_write_b16 v40, v35 offset:526
.LBB3_96:
	s_or_b64 exec, exec, s[0:1]
	v_lshrrev_b32_e32 v35, s22, v2
	v_lshrrev_b32_e32 v36, s22, v3
	;; [unrolled: 1-line block ×8, first 2 shown]
	v_lshlrev_b32_e32 v35, 4, v35
	s_movk_i32 s0, 0xff0
	v_lshlrev_b32_e32 v36, 4, v36
	v_lshlrev_b32_e32 v37, 4, v37
	;; [unrolled: 1-line block ×7, first 2 shown]
	v_and_or_b32 v35, v35, s0, v46
	v_and_or_b32 v36, v36, s0, v46
	;; [unrolled: 1-line block ×8, first 2 shown]
	s_waitcnt lgkmcnt(0)
	s_barrier
	ds_read_u16 v35, v35 offset:512
	ds_read_u16 v36, v36 offset:512
	;; [unrolled: 1-line block ×8, first 2 shown]
	s_waitcnt lgkmcnt(7)
	v_add_u32_e32 v18, v18, v35
	s_waitcnt lgkmcnt(6)
	v_add_u32_e32 v19, v19, v36
	;; [unrolled: 2-line block ×8, first 2 shown]
	v_lshrrev_b32_e32 v35, s22, v10
	v_lshrrev_b32_e32 v36, s22, v11
	;; [unrolled: 1-line block ×8, first 2 shown]
	v_lshlrev_b32_e32 v35, 4, v35
	v_lshlrev_b32_e32 v36, 4, v36
	;; [unrolled: 1-line block ×8, first 2 shown]
	v_and_or_b32 v35, v35, s0, v46
	v_and_or_b32 v36, v36, s0, v46
	;; [unrolled: 1-line block ×8, first 2 shown]
	ds_read_u16 v35, v35 offset:512
	ds_read_u16 v36, v36 offset:512
	;; [unrolled: 1-line block ×8, first 2 shown]
	s_waitcnt lgkmcnt(7)
	v_add_u32_e32 v26, v26, v35
	s_waitcnt lgkmcnt(6)
	v_add_u32_e32 v27, v27, v36
	;; [unrolled: 2-line block ×8, first 2 shown]
	s_mov_b64 s[0:1], 0
	s_movk_i32 s6, 0x1df
	s_mov_b64 s[2:3], 0
	s_barrier
	s_branch .LBB3_98
.LBB3_97:                               ;   in Loop: Header=BB3_98 Depth=1
	s_or_b64 exec, exec, s[4:5]
	s_add_u32 s2, s2, 1
	v_add_u32_e32 v35, 32, v44
	s_addc_u32 s3, s3, 0
	v_cmp_lt_u32_e32 vcc, s6, v44
	s_or_b64 s[0:1], vcc, s[0:1]
	v_mov_b32_e32 v44, v35
	s_andn2_b64 exec, exec, s[0:1]
	s_cbranch_execz .LBB3_100
.LBB3_98:                               ; =>This Inner Loop Header: Depth=1
	v_add_u32_e32 v35, v1, v44
	v_cmp_gt_u32_e32 vcc, s20, v35
	s_and_saveexec_b64 s[4:5], vcc
	s_cbranch_execz .LBB3_97
; %bb.99:                               ;   in Loop: Header=BB3_98 Depth=1
	s_set_gpr_idx_on s2, gpr_idx(SRC0)
	v_mov_b32_e32 v35, v2
	v_mov_b32_e32 v36, v18
	s_set_gpr_idx_off
	v_lshlrev_b32_e32 v36, 2, v36
	ds_write_b32 v36, v35
	s_branch .LBB3_97
.LBB3_100:
	s_or_b64 exec, exec, s[0:1]
	s_mov_b64 s[0:1], 0
	v_mov_b32_e32 v3, 0
	s_movk_i32 s4, 0xeff
	s_waitcnt lgkmcnt(0)
	s_barrier
	s_branch .LBB3_102
.LBB3_101:                              ;   in Loop: Header=BB3_102 Depth=1
	s_or_b64 exec, exec, s[2:3]
	v_add_u32_e32 v1, 0x100, v0
	v_cmp_lt_u32_e32 vcc, s4, v0
	v_add_u32_e32 v34, 0x400, v34
	s_or_b64 s[0:1], vcc, s[0:1]
	v_mov_b32_e32 v0, v1
	s_andn2_b64 exec, exec, s[0:1]
	s_cbranch_execz .LBB3_104
.LBB3_102:                              ; =>This Inner Loop Header: Depth=1
	v_add_u32_e32 v1, s21, v0
	v_cmp_gt_u32_e32 vcc, s20, v1
	s_and_saveexec_b64 s[2:3], vcc
	s_cbranch_execz .LBB3_101
; %bb.103:                              ;   in Loop: Header=BB3_102 Depth=1
	ds_read_b32 v1, v34
	s_waitcnt lgkmcnt(0)
	v_bfe_u32 v2, v1, s22, 8
	v_lshlrev_b32_e32 v2, 2, v2
	ds_read_b32 v2, v2 offset:20480
	s_waitcnt lgkmcnt(0)
	v_add_u32_e32 v2, v0, v2
	v_lshl_add_u64 v[4:5], v[2:3], 2, s[10:11]
	global_store_dword v[4:5], v1, off
	s_branch .LBB3_101
.LBB3_104:
	s_endpgm
	.section	.rodata,"a",@progbits
	.p2align	6, 0x0
	.amdhsa_kernel OnesweepReorderKey64
		.amdhsa_group_segment_fixed_size 21504
		.amdhsa_private_segment_fixed_size 0
		.amdhsa_kernarg_size 56
		.amdhsa_user_sgpr_count 2
		.amdhsa_user_sgpr_dispatch_ptr 0
		.amdhsa_user_sgpr_queue_ptr 0
		.amdhsa_user_sgpr_kernarg_segment_ptr 1
		.amdhsa_user_sgpr_dispatch_id 0
		.amdhsa_user_sgpr_kernarg_preload_length 0
		.amdhsa_user_sgpr_kernarg_preload_offset 0
		.amdhsa_user_sgpr_private_segment_size 0
		.amdhsa_uses_dynamic_stack 0
		.amdhsa_enable_private_segment 0
		.amdhsa_system_sgpr_workgroup_id_x 1
		.amdhsa_system_sgpr_workgroup_id_y 0
		.amdhsa_system_sgpr_workgroup_id_z 0
		.amdhsa_system_sgpr_workgroup_info 0
		.amdhsa_system_vgpr_workitem_id 0
		.amdhsa_next_free_vgpr 65
		.amdhsa_next_free_sgpr 75
		.amdhsa_accum_offset 64
		.amdhsa_reserve_vcc 1
		.amdhsa_float_round_mode_32 0
		.amdhsa_float_round_mode_16_64 0
		.amdhsa_float_denorm_mode_32 3
		.amdhsa_float_denorm_mode_16_64 3
		.amdhsa_dx10_clamp 1
		.amdhsa_ieee_mode 1
		.amdhsa_fp16_overflow 0
		.amdhsa_tg_split 0
		.amdhsa_exception_fp_ieee_invalid_op 0
		.amdhsa_exception_fp_denorm_src 0
		.amdhsa_exception_fp_ieee_div_zero 0
		.amdhsa_exception_fp_ieee_overflow 0
		.amdhsa_exception_fp_ieee_underflow 0
		.amdhsa_exception_fp_ieee_inexact 0
		.amdhsa_exception_int_div_zero 0
	.end_amdhsa_kernel
	.text
.Lfunc_end3:
	.size	OnesweepReorderKey64, .Lfunc_end3-OnesweepReorderKey64
                                        ; -- End function
	.set OnesweepReorderKey64.num_vgpr, 62
	.set OnesweepReorderKey64.num_agpr, 0
	.set OnesweepReorderKey64.numbered_sgpr, 25
	.set OnesweepReorderKey64.num_named_barrier, 0
	.set OnesweepReorderKey64.private_seg_size, 0
	.set OnesweepReorderKey64.uses_vcc, 1
	.set OnesweepReorderKey64.uses_flat_scratch, 0
	.set OnesweepReorderKey64.has_dyn_sized_stack, 0
	.set OnesweepReorderKey64.has_recursion, 0
	.set OnesweepReorderKey64.has_indirect_call, 0
	.section	.AMDGPU.csdata,"",@progbits
; Kernel info:
; codeLenInByte = 4032
; TotalNumSgprs: 31
; NumVgprs: 62
; NumAgprs: 0
; TotalNumVgprs: 62
; ScratchSize: 0
; MemoryBound: 0
; FloatMode: 240
; IeeeMode: 1
; LDSByteSize: 21504 bytes/workgroup (compile time only)
; SGPRBlocks: 10
; VGPRBlocks: 8
; NumSGPRsForWavesPerEU: 81
; NumVGPRsForWavesPerEU: 65
; AccumOffset: 64
; Occupancy: 7
; WaveLimiterHint : 0
; COMPUTE_PGM_RSRC2:SCRATCH_EN: 0
; COMPUTE_PGM_RSRC2:USER_SGPR: 2
; COMPUTE_PGM_RSRC2:TRAP_HANDLER: 0
; COMPUTE_PGM_RSRC2:TGID_X_EN: 1
; COMPUTE_PGM_RSRC2:TGID_Y_EN: 0
; COMPUTE_PGM_RSRC2:TGID_Z_EN: 0
; COMPUTE_PGM_RSRC2:TIDIG_COMP_CNT: 0
; COMPUTE_PGM_RSRC3_GFX90A:ACCUM_OFFSET: 15
; COMPUTE_PGM_RSRC3_GFX90A:TG_SPLIT: 0
	.text
	.protected	OnesweepReorderKeyPair64 ; -- Begin function OnesweepReorderKeyPair64
	.globl	OnesweepReorderKeyPair64
	.p2align	8
	.type	OnesweepReorderKeyPair64,@function
OnesweepReorderKeyPair64:               ; @OnesweepReorderKeyPair64
; %bb.0:
	s_load_dwordx8 s[8:15], s[0:1], 0x0
	s_load_dword s24, s[0:1], 0x20
	v_lshrrev_b32_e32 v18, 5, v0
	s_lshl_b32 s25, s2, 12
	v_and_b32_e32 v44, 31, v0
	v_lshl_or_b32 v1, v18, 9, s25
	v_mov_b32_e32 v2, 0
	v_or_b32_e32 v34, v1, v44
	v_lshlrev_b32_e32 v45, 1, v0
	s_waitcnt lgkmcnt(0)
	v_cmp_gt_u32_e32 vcc, s24, v34
	v_mov_b32_e32 v3, v2
	v_mov_b32_e32 v4, v2
	;; [unrolled: 1-line block ×15, first 2 shown]
	ds_write_b16 v45, v2 offset:512
	ds_write_b16 v45, v2 offset:1024
	;; [unrolled: 1-line block ×8, first 2 shown]
	s_waitcnt lgkmcnt(0)
	s_barrier
	s_and_saveexec_b64 s[4:5], vcc
	s_cbranch_execz .LBB4_2
; %bb.1:
	v_mov_b32_e32 v35, v2
	v_lshl_add_u64 v[4:5], v[34:35], 2, s[8:9]
	global_load_dword v46, v[4:5], off
	v_mov_b32_e32 v47, v2
	v_mov_b32_e32 v48, v2
	;; [unrolled: 1-line block ×15, first 2 shown]
	s_waitcnt vmcnt(0)
	v_mov_b64_e32 v[2:3], v[46:47]
	v_mov_b64_e32 v[4:5], v[48:49]
	;; [unrolled: 1-line block ×8, first 2 shown]
.LBB4_2:
	s_or_b64 exec, exec, s[4:5]
	v_or_b32_e32 v19, 32, v34
	v_cmp_gt_u32_e32 vcc, s24, v19
	s_and_saveexec_b64 s[4:5], vcc
	s_cbranch_execz .LBB4_4
; %bb.3:
	v_mov_b32_e32 v35, 0
	v_lshl_add_u64 v[20:21], v[34:35], 2, s[8:9]
	global_load_dword v3, v[20:21], off offset:128
.LBB4_4:
	s_or_b64 exec, exec, s[4:5]
	v_or_b32_e32 v19, 64, v34
	v_cmp_gt_u32_e32 vcc, s24, v19
	s_and_saveexec_b64 s[4:5], vcc
	s_cbranch_execz .LBB4_6
; %bb.5:
	v_mov_b32_e32 v35, 0
	v_lshl_add_u64 v[20:21], v[34:35], 2, s[8:9]
	global_load_dword v4, v[20:21], off offset:256
.LBB4_6:
	;; [unrolled: 10-line block ×15, first 2 shown]
	s_or_b64 exec, exec, s[4:5]
	s_load_dwordx2 s[20:21], s[0:1], 0x40
	v_lshlrev_b32_e64 v19, v44, -1
	v_lshlrev_b32_e32 v46, 1, v18
	v_mov_b32_e32 v18, 0
	v_not_b32_e32 v35, v19
	s_waitcnt lgkmcnt(0)
	s_lshl_b32 s26, s21, 3
	s_add_i32 s26, s26, s20
	s_mov_b64 s[16:17], 0
	s_movk_i32 s3, 0x7f
	v_mov_b32_e32 v19, v18
	v_mov_b32_e32 v20, v18
	;; [unrolled: 1-line block ×15, first 2 shown]
	s_branch .LBB4_34
.LBB4_33:                               ;   in Loop: Header=BB4_34 Depth=1
	s_or_b64 exec, exec, s[6:7]
	v_mov_b32_e32 v48, s4
	v_bitop3_b32 v36, v36, vcc_lo, v48 bitop3:0x48
	v_bitop3_b32 v36, v36, v38, v37 bitop3:0x80
	v_bitop3_b32 v36, v36, v41, v39 bitop3:0x80
	;; [unrolled: 1-line block ×4, first 2 shown]
	v_bcnt_u32_b32 v36, v36, 0
	v_add_u32_sdwa v36, v36, v40 dst_sel:DWORD dst_unused:UNUSED_PAD src0_sel:DWORD src1_sel:WORD_0
	s_set_gpr_idx_on s16, gpr_idx(DST)
	v_mov_b32_e32 v18, v36
	s_set_gpr_idx_off
	s_add_u32 s16, s16, 1
	s_addc_u32 s17, s17, 0
	s_cmp_eq_u32 s16, 16
	v_add_u32_e32 v34, 32, v34
	s_waitcnt lgkmcnt(0)
	s_barrier
	s_cbranch_scc1 .LBB4_36
.LBB4_34:                               ; =>This Inner Loop Header: Depth=1
	s_waitcnt vmcnt(0)
	s_set_gpr_idx_on s16, gpr_idx(SRC0)
	v_mov_b32_e32 v36, v2
	s_set_gpr_idx_off
	v_lshrrev_b32_e32 v40, s26, v36
	v_bfe_u32 v49, v36, s26, 8
	v_bfe_u32 v36, v36, s26, 1
	v_add_co_u32_e64 v36, s[4:5], -1, v36
	v_cmp_gt_u32_e32 vcc, s24, v34
	s_nop 0
	v_cndmask_b32_e64 v37, 0, 1, s[4:5]
	v_cmp_ne_u32_e64 s[4:5], 0, v37
	v_bfe_u32 v37, v40, 1, 1
	v_add_co_u32_e64 v37, s[6:7], -1, v37
	v_xor_b32_e32 v38, s4, v36
	s_nop 0
	v_cndmask_b32_e64 v39, 0, 1, s[6:7]
	v_cmp_ne_u32_e64 s[6:7], 0, v39
	s_nop 1
	v_xor_b32_e32 v37, s6, v37
	v_bitop3_b32 v41, v38, v37, vcc_lo bitop3:0x80
	v_bfe_u32 v38, v40, 2, 1
	v_add_co_u32_e64 v38, s[6:7], -1, v38
	s_nop 1
	v_cndmask_b32_e64 v39, 0, 1, s[6:7]
	v_cmp_ne_u32_e64 s[6:7], 0, v39
	v_bfe_u32 v39, v40, 3, 1
	s_nop 0
	v_xor_b32_e32 v38, s6, v38
	v_add_co_u32_e64 v39, s[6:7], -1, v39
	s_nop 1
	v_cndmask_b32_e64 v42, 0, 1, s[6:7]
	v_cmp_ne_u32_e64 s[6:7], 0, v42
	s_nop 1
	v_xor_b32_e32 v39, s6, v39
	v_bitop3_b32 v43, v41, v39, v38 bitop3:0x80
	v_bfe_u32 v41, v40, 4, 1
	v_add_co_u32_e64 v41, s[6:7], -1, v41
	s_nop 1
	v_cndmask_b32_e64 v42, 0, 1, s[6:7]
	v_cmp_ne_u32_e64 s[6:7], 0, v42
	v_bfe_u32 v42, v40, 5, 1
	s_nop 0
	v_xor_b32_e32 v41, s6, v41
	v_add_co_u32_e64 v42, s[6:7], -1, v42
	s_nop 1
	v_cndmask_b32_e64 v47, 0, 1, s[6:7]
	v_cmp_ne_u32_e64 s[6:7], 0, v47
	s_nop 1
	v_xor_b32_e32 v42, s6, v42
	v_bitop3_b32 v48, v43, v42, v41 bitop3:0x80
	v_bfe_u32 v43, v40, 6, 1
	v_add_co_u32_e64 v43, s[6:7], -1, v43
	v_bfe_u32 v40, v40, 7, 1
	s_nop 0
	v_cndmask_b32_e64 v47, 0, 1, s[6:7]
	v_cmp_ne_u32_e64 s[6:7], 0, v47
	v_add_u32_e32 v40, -1, v40
	s_nop 0
	v_xor_b32_e32 v43, s6, v43
	v_cmp_lt_u32_e64 s[6:7], s3, v49
	v_lshlrev_b32_e32 v49, 4, v49
	s_nop 0
	v_xor_b32_e32 v47, s6, v40
	v_or_b32_e32 v40, v46, v49
	ds_read_u16 v40, v40 offset:512
	v_bitop3_b32 v48, v48, v47, v43 bitop3:0x80
	v_ffbl_b32_e32 v50, v48
	v_cmp_ne_u32_e64 s[6:7], 0, v48
	v_cmp_eq_u32_e64 s[8:9], v50, v44
	s_and_b64 s[8:9], s[6:7], s[8:9]
	s_waitcnt lgkmcnt(0)
	s_barrier
	s_and_saveexec_b64 s[6:7], s[8:9]
	s_cbranch_execz .LBB4_33
; %bb.35:                               ;   in Loop: Header=BB4_34 Depth=1
	v_bcnt_u32_b32 v48, v48, v40
	v_add_u32_e32 v49, v46, v49
	ds_write_b16 v49, v48 offset:512
	s_branch .LBB4_33
.LBB4_36:
	s_movk_i32 s3, 0x100
	v_cmp_gt_u32_e32 vcc, s3, v0
	s_barrier
	s_and_saveexec_b64 s[4:5], vcc
	s_cbranch_execz .LBB4_38
; %bb.37:
	v_lshlrev_b32_e32 v38, 4, v0
	ds_read2_b32 v[34:35], v38 offset0:128 offset1:129
	ds_read2_b32 v[36:37], v38 offset0:130 offset1:131
	s_waitcnt lgkmcnt(0)
	v_pk_add_u16 v35, v35, v37
	v_pk_add_u16 v34, v34, v36
	s_nop 0
	v_pk_add_u16 v34, v34, v35
	v_mad_i32_i24 v35, v0, -14, v38
	v_add_u16_sdwa v34, v34, v34 dst_sel:DWORD dst_unused:UNUSED_PAD src0_sel:DWORD src1_sel:WORD_1
	ds_write_b16 v35, v34
.LBB4_38:
	s_or_b64 exec, exec, s[4:5]
	s_load_dwordx4 s[16:19], s[0:1], 0x28
	s_load_dwordx2 s[8:9], s[0:1], 0x38
	s_cmpk_gt_u32 s2, 0x3ff
	v_cmp_eq_u32_e64 s[0:1], 0, v0
	s_cselect_b64 s[4:5], -1, 0
	s_and_b64 s[4:5], s[0:1], s[4:5]
	s_and_saveexec_b64 s[6:7], s[4:5]
	s_cbranch_execz .LBB4_43
; %bb.39:
	v_mov_b32_e32 v34, 0
	s_branch .LBB4_41
.LBB4_40:                               ;   in Loop: Header=BB4_41 Depth=1
	s_or_b64 exec, exec, s[22:23]
	s_waitcnt vmcnt(0)
	v_readfirstlane_b32 s3, v35
	s_andn2_b32 s3, s3, 31
	s_addk_i32 s3, 0x3c0
	s_cmp_le_u32 s3, s2
	s_cbranch_scc0 .LBB4_43
.LBB4_41:                               ; =>This Inner Loop Header: Depth=1
	v_mbcnt_lo_u32_b32 v35, exec_lo, 0
	v_mbcnt_hi_u32_b32 v35, exec_hi, v35
	v_cmp_eq_u32_e64 s[4:5], 0, v35
                                        ; implicit-def: $vgpr35
	s_and_saveexec_b64 s[22:23], s[4:5]
	s_cbranch_execz .LBB4_40
; %bb.42:                               ;   in Loop: Header=BB4_41 Depth=1
	s_waitcnt lgkmcnt(0)
	global_load_dword v35, v34, s[8:9] sc1
	s_branch .LBB4_40
.LBB4_43:
	s_or_b64 exec, exec, s[6:7]
	s_waitcnt lgkmcnt(0)
	s_barrier
	s_and_saveexec_b64 s[22:23], vcc
	s_cbranch_execz .LBB4_51
; %bb.44:
	s_lshl_b32 s3, s2, 8
	ds_read_u16 v34, v45
	s_and_b32 s4, s3, 0x3ff00
	s_and_b32 s3, s2, 0x3fffffff
	v_or_b32_e32 v36, s4, v0
	s_or_b32 s5, s3, 2.0
	v_lshlrev_b32_e32 v38, 3, v36
	v_mov_b32_e32 v39, 0
	v_mov_b32_e32 v40, s16
	;; [unrolled: 1-line block ×4, first 2 shown]
	v_lshl_add_u64 v[36:37], s[18:19], 0, v[38:39]
	v_lshl_or_b32 v38, s21, 8, v0
	s_waitcnt lgkmcnt(0)
	flat_store_dwordx2 v[36:37], v[34:35] sc0 sc1
	s_waitcnt vmcnt(0)
	v_lshl_add_u64 v[40:41], v[38:39], 2, v[40:41]
	global_load_dword v35, v[40:41], off
	s_mov_b64 s[16:17], 0
	s_mov_b32 s27, s2
	v_mov_b32_e32 v47, 0
                                        ; implicit-def: $sgpr4_sgpr5
	s_branch .LBB4_46
.LBB4_45:                               ;   in Loop: Header=BB4_46 Depth=1
                                        ; implicit-def: $sgpr27
	s_and_b64 s[6:7], exec, s[4:5]
	s_or_b64 s[16:17], s[6:7], s[16:17]
	s_andn2_b64 exec, exec, s[16:17]
	s_cbranch_execz .LBB4_50
.LBB4_46:                               ; =>This Loop Header: Depth=1
                                        ;     Child Loop BB4_48 Depth 2
	s_or_b64 s[4:5], s[4:5], exec
	s_cmp_lt_i32 s27, 1
	s_cbranch_scc1 .LBB4_45
; %bb.47:                               ;   in Loop: Header=BB4_46 Depth=1
	s_add_i32 s27, s27, -1
	s_lshl_b32 s4, s27, 8
	s_and_b32 s4, s4, 0x3ff00
	v_or_b32_e32 v38, s4, v0
	s_sub_i32 s4, s2, s27
	s_cmp_eq_u32 s4, 64
	v_lshlrev_b32_e32 v38, 3, v38
	s_cselect_b32 s28, 2, 3
	v_lshl_add_u64 v[40:41], s[18:19], 0, v[38:39]
	s_mov_b64 s[20:21], 0
.LBB4_48:                               ;   Parent Loop BB4_46 Depth=1
                                        ; =>  This Inner Loop Header: Depth=2
	flat_load_dwordx2 v[42:43], v[40:41] sc0 sc1
	s_waitcnt vmcnt(0) lgkmcnt(0)
	v_lshrrev_b32_e32 v38, 30, v43
	v_and_b32_e32 v43, 0x3fffffff, v43
	v_and_b32_e32 v48, s28, v38
	v_cmp_ne_u32_e64 s[4:5], 0, v48
	v_cmp_eq_u32_e64 s[6:7], s27, v43
	s_and_b64 s[4:5], s[4:5], s[6:7]
	s_and_b64 s[4:5], exec, s[4:5]
	s_or_b64 s[20:21], s[4:5], s[20:21]
	s_andn2_b64 exec, exec, s[20:21]
	s_cbranch_execnz .LBB4_48
; %bb.49:                               ;   in Loop: Header=BB4_46 Depth=1
	s_or_b64 exec, exec, s[20:21]
	v_add_u32_e32 v47, v47, v42
	v_cmp_eq_u32_e64 s[4:5], 2, v38
	s_and_b64 s[6:7], exec, s[4:5]
	s_or_b64 s[16:17], s[6:7], s[16:17]
	s_andn2_b64 exec, exec, s[16:17]
	s_cbranch_execnz .LBB4_46
.LBB4_50:
	s_or_b64 exec, exec, s[16:17]
	s_bitset1_b32 s3, 31
	v_add_u32_e32 v38, v47, v34
	v_mov_b32_e32 v39, s3
	s_waitcnt vmcnt(0)
	v_add_u32_e32 v34, v47, v35
	v_lshlrev_b32_e32 v35, 2, v0
	flat_store_dwordx2 v[36:37], v[38:39] sc0 sc1
	s_waitcnt vmcnt(0)
	ds_write_b32 v35, v34 offset:20480
.LBB4_51:
	s_or_b64 exec, exec, s[22:23]
; %bb.52:
	s_waitcnt lgkmcnt(0)
	s_barrier
	s_and_saveexec_b64 s[4:5], s[0:1]
	s_cbranch_execz .LBB4_58
; %bb.53:
	v_mov_b32_e32 v34, 0
	s_branch .LBB4_55
.LBB4_54:                               ;   in Loop: Header=BB4_55 Depth=1
	s_or_b64 exec, exec, s[6:7]
	s_waitcnt vmcnt(0)
	v_readfirstlane_b32 s0, v35
	s_xor_b32 s0, s0, s2
	s_cmp_gt_u32 s0, 31
	s_cbranch_scc0 .LBB4_57
.LBB4_55:                               ; =>This Inner Loop Header: Depth=1
	v_mbcnt_lo_u32_b32 v35, exec_lo, 0
	v_mbcnt_hi_u32_b32 v35, exec_hi, v35
	v_cmp_eq_u32_e64 s[0:1], 0, v35
                                        ; implicit-def: $vgpr35
	s_and_saveexec_b64 s[6:7], s[0:1]
	s_cbranch_execz .LBB4_54
; %bb.56:                               ;   in Loop: Header=BB4_55 Depth=1
	global_load_dword v35, v34, s[8:9] sc1
	s_branch .LBB4_54
.LBB4_57:
	s_add_i32 s0, s24, 0xfff
	s_lshr_b32 s0, s0, 12
	s_add_i32 s0, s0, -1
	v_mov_b32_e32 v34, 0
	v_mov_b32_e32 v35, s0
	global_atomic_inc v34, v35, s[8:9]
.LBB4_58:
	s_or_b64 exec, exec, s[4:5]
	s_movk_i32 s0, 0x100
	v_cmp_gt_u32_e64 s[0:1], s0, v0
	v_mov_b32_e32 v34, 0
	s_barrier
	s_and_saveexec_b64 s[2:3], s[0:1]
; %bb.59:
	ds_read_u16 v34, v45
; %bb.60:
	s_or_b64 exec, exec, s[2:3]
	s_movk_i32 s2, 0xff00
	v_or_b32_e32 v36, 0xffffff00, v0
	v_cmp_lt_u32_e64 s[2:3], s2, v36
	s_waitcnt lgkmcnt(0)
	v_mov_b32_e32 v35, v34
	s_and_saveexec_b64 s[4:5], s[2:3]
	s_cbranch_execz .LBB4_62
; %bb.61:
	v_add_u32_e32 v35, -2, v45
	ds_read_u16 v35, v35
	s_waitcnt lgkmcnt(0)
	v_add_u16_e32 v35, v35, v34
.LBB4_62:
	s_or_b64 exec, exec, s[4:5]
	s_barrier
	s_and_saveexec_b64 s[2:3], s[0:1]
; %bb.63:
	ds_write_b16 v45, v35
; %bb.64:
	s_or_b64 exec, exec, s[2:3]
	s_movk_i32 s2, 0xff01
	v_cmp_lt_u32_e64 s[2:3], s2, v36
	s_waitcnt lgkmcnt(0)
	s_barrier
	s_and_saveexec_b64 s[4:5], s[2:3]
	s_cbranch_execz .LBB4_66
; %bb.65:
	v_add_u32_e32 v37, -4, v45
	ds_read_u16 v37, v37
	s_waitcnt lgkmcnt(0)
	v_add_u16_e32 v35, v37, v35
.LBB4_66:
	s_or_b64 exec, exec, s[4:5]
	s_barrier
	s_and_saveexec_b64 s[2:3], s[0:1]
; %bb.67:
	ds_write_b16 v45, v35
; %bb.68:
	s_or_b64 exec, exec, s[2:3]
	s_movk_i32 s2, 0xff03
	v_cmp_lt_u32_e64 s[2:3], s2, v36
	s_waitcnt lgkmcnt(0)
	s_barrier
	;; [unrolled: 19-line block ×4, first 2 shown]
	s_and_saveexec_b64 s[4:5], s[2:3]
	s_cbranch_execz .LBB4_78
; %bb.77:
	v_subrev_u32_e32 v37, 32, v45
	ds_read_u16 v37, v37
	s_waitcnt lgkmcnt(0)
	v_add_u16_e32 v35, v37, v35
.LBB4_78:
	s_or_b64 exec, exec, s[4:5]
	s_barrier
	s_and_saveexec_b64 s[2:3], s[0:1]
; %bb.79:
	ds_write_b16 v45, v35
; %bb.80:
	s_or_b64 exec, exec, s[2:3]
	s_movk_i32 s2, 0xff1f
	v_cmp_lt_u32_e64 s[2:3], s2, v36
	s_waitcnt lgkmcnt(0)
	s_barrier
	s_and_saveexec_b64 s[4:5], s[2:3]
	s_cbranch_execz .LBB4_82
; %bb.81:
	v_subrev_u32_e32 v37, 64, v45
	ds_read_u16 v37, v37
	s_waitcnt lgkmcnt(0)
	v_add_u16_e32 v35, v37, v35
.LBB4_82:
	s_or_b64 exec, exec, s[4:5]
	s_barrier
	s_and_saveexec_b64 s[2:3], s[0:1]
; %bb.83:
	ds_write_b16 v45, v35
; %bb.84:
	s_or_b64 exec, exec, s[2:3]
	s_movk_i32 s2, 0xff3f
	v_cmp_lt_u32_e64 s[2:3], s2, v36
	s_waitcnt lgkmcnt(0)
	s_barrier
	s_and_saveexec_b64 s[4:5], s[2:3]
	s_cbranch_execz .LBB4_86
; %bb.85:
	v_add_u32_e32 v36, 0xffffff80, v45
	ds_read_u16 v36, v36
	s_waitcnt lgkmcnt(0)
	v_add_u16_e32 v35, v36, v35
.LBB4_86:
	s_or_b64 exec, exec, s[4:5]
	s_barrier
	s_and_saveexec_b64 s[2:3], s[0:1]
; %bb.87:
	ds_write_b16 v45, v35
; %bb.88:
	s_or_b64 exec, exec, s[2:3]
	v_and_b32_e32 v36, 0x80, v0
	v_cmp_ne_u32_e64 s[2:3], 0, v36
	s_waitcnt lgkmcnt(0)
	s_barrier
	s_and_saveexec_b64 s[4:5], s[2:3]
	s_cbranch_execz .LBB4_90
; %bb.89:
	v_add_u32_e32 v36, 0xffffff00, v45
	ds_read_u16 v36, v36
	s_waitcnt lgkmcnt(0)
	v_add_u16_e32 v35, v36, v35
.LBB4_90:
	s_or_b64 exec, exec, s[4:5]
	s_barrier
	s_and_saveexec_b64 s[2:3], s[0:1]
; %bb.91:
	ds_write_b16 v45, v35
; %bb.92:
	s_or_b64 exec, exec, s[2:3]
	s_waitcnt lgkmcnt(0)
	s_barrier
	s_barrier
	s_and_saveexec_b64 s[2:3], s[0:1]
; %bb.93:
	v_sub_u16_e32 v34, v35, v34
	ds_write_b16 v45, v34
; %bb.94:
	s_or_b64 exec, exec, s[2:3]
	v_lshlrev_b32_e32 v36, 2, v0
	s_waitcnt lgkmcnt(0)
	s_barrier
	s_and_saveexec_b64 s[0:1], vcc
	s_cbranch_execz .LBB4_96
; %bb.95:
	v_lshlrev_b32_e32 v37, 2, v0
	ds_read_u16 v38, v45
	ds_read_b32 v39, v37 offset:20480
	v_mad_u32_u24 v41, v0, 14, v45
	ds_read2_b32 v[34:35], v41 offset0:128 offset1:129
	ds_read_b32 v40, v41 offset:520
	ds_read_u16 v42, v41 offset:524
	s_mov_b32 s2, 0x5040100
	s_waitcnt lgkmcnt(3)
	v_sub_u32_sdwa v39, v39, v38 dst_sel:DWORD dst_unused:UNUSED_PAD src0_sel:DWORD src1_sel:WORD_0
	ds_write_b32 v37, v39 offset:20480
	ds_write_b16 v41, v38 offset:512
	s_waitcnt lgkmcnt(4)
	v_add_u32_sdwa v37, v34, v38 dst_sel:DWORD dst_unused:UNUSED_PAD src0_sel:WORD_0 src1_sel:WORD_0
	v_add_u32_sdwa v34, v37, v34 dst_sel:DWORD dst_unused:UNUSED_PAD src0_sel:DWORD src1_sel:WORD_1
	v_add_u32_sdwa v38, v34, v35 dst_sel:DWORD dst_unused:UNUSED_PAD src0_sel:DWORD src1_sel:WORD_0
	v_add_u32_sdwa v35, v38, v35 dst_sel:DWORD dst_unused:UNUSED_PAD src0_sel:DWORD src1_sel:WORD_1
	s_waitcnt lgkmcnt(3)
	v_add_u16_e32 v43, v40, v35
	v_add_u16_sdwa v45, v40, v43 dst_sel:DWORD dst_unused:UNUSED_PAD src0_sel:WORD_1 src1_sel:DWORD
	v_perm_b32 v39, v35, v38, s2
	v_perm_b32 v40, v45, v43, s2
	;; [unrolled: 1-line block ×3, first 2 shown]
	s_waitcnt lgkmcnt(2)
	v_add_u16_e32 v34, v42, v45
	ds_write_b96 v41, v[38:40] offset:514
	ds_write_b16 v41, v34 offset:526
.LBB4_96:
	s_or_b64 exec, exec, s[0:1]
	v_lshrrev_b32_e32 v34, s26, v2
	v_lshrrev_b32_e32 v35, s26, v3
	v_lshrrev_b32_e32 v37, s26, v4
	v_lshrrev_b32_e32 v38, s26, v5
	v_lshrrev_b32_e32 v39, s26, v6
	v_lshrrev_b32_e32 v40, s26, v7
	v_lshrrev_b32_e32 v41, s26, v8
	v_lshrrev_b32_e32 v42, s26, v9
	v_lshlrev_b32_e32 v34, 4, v34
	s_movk_i32 s0, 0xff0
	v_lshlrev_b32_e32 v35, 4, v35
	v_lshlrev_b32_e32 v37, 4, v37
	;; [unrolled: 1-line block ×7, first 2 shown]
	v_and_or_b32 v34, v34, s0, v46
	v_and_or_b32 v35, v35, s0, v46
	;; [unrolled: 1-line block ×8, first 2 shown]
	s_waitcnt lgkmcnt(0)
	s_barrier
	ds_read_u16 v34, v34 offset:512
	ds_read_u16 v35, v35 offset:512
	;; [unrolled: 1-line block ×8, first 2 shown]
	s_waitcnt lgkmcnt(7)
	v_add_u32_e32 v18, v18, v34
	s_waitcnt lgkmcnt(6)
	v_add_u32_e32 v19, v19, v35
	;; [unrolled: 2-line block ×8, first 2 shown]
	v_lshrrev_b32_e32 v34, s26, v10
	v_lshrrev_b32_e32 v35, s26, v11
	;; [unrolled: 1-line block ×8, first 2 shown]
	v_lshlrev_b32_e32 v34, 4, v34
	v_lshlrev_b32_e32 v35, 4, v35
	;; [unrolled: 1-line block ×8, first 2 shown]
	v_and_or_b32 v34, v34, s0, v46
	v_and_or_b32 v35, v35, s0, v46
	v_and_or_b32 v37, v37, s0, v46
	v_and_or_b32 v38, v38, s0, v46
	v_and_or_b32 v39, v39, s0, v46
	v_and_or_b32 v40, v40, s0, v46
	v_and_or_b32 v41, v41, s0, v46
	v_and_or_b32 v42, v42, s0, v46
	ds_read_u16 v34, v34 offset:512
	ds_read_u16 v35, v35 offset:512
	;; [unrolled: 1-line block ×8, first 2 shown]
	s_waitcnt lgkmcnt(7)
	v_add_u32_e32 v26, v26, v34
	s_waitcnt lgkmcnt(6)
	v_add_u32_e32 v27, v27, v35
	;; [unrolled: 2-line block ×8, first 2 shown]
	s_mov_b64 s[0:1], 0
	s_movk_i32 s6, 0x1df
	s_mov_b64 s[2:3], 0
	v_mov_b32_e32 v34, v44
	s_barrier
	s_branch .LBB4_98
.LBB4_97:                               ;   in Loop: Header=BB4_98 Depth=1
	s_or_b64 exec, exec, s[4:5]
	s_add_u32 s2, s2, 1
	v_add_u32_e32 v35, 32, v34
	s_addc_u32 s3, s3, 0
	v_cmp_lt_u32_e32 vcc, s6, v34
	s_or_b64 s[0:1], vcc, s[0:1]
	v_mov_b32_e32 v34, v35
	s_andn2_b64 exec, exec, s[0:1]
	s_cbranch_execz .LBB4_100
.LBB4_98:                               ; =>This Inner Loop Header: Depth=1
	v_add_u32_e32 v35, v1, v34
	v_cmp_gt_u32_e32 vcc, s24, v35
	s_and_saveexec_b64 s[4:5], vcc
	s_cbranch_execz .LBB4_97
; %bb.99:                               ;   in Loop: Header=BB4_98 Depth=1
	s_set_gpr_idx_on s2, gpr_idx(SRC0)
	v_mov_b32_e32 v35, v2
	v_mov_b32_e32 v37, v18
	s_set_gpr_idx_off
	v_lshlrev_b32_e32 v37, 2, v37
	ds_write_b32 v37, v35
	s_branch .LBB4_97
.LBB4_100:
	s_or_b64 exec, exec, s[0:1]
	s_mov_b64 s[0:1], 0
	v_mov_b32_e32 v35, 0
	s_movk_i32 s4, 0xeff
	v_mov_b32_e32 v37, v36
	v_mov_b32_e32 v38, v0
	s_waitcnt lgkmcnt(0)
	s_barrier
	s_branch .LBB4_102
.LBB4_101:                              ;   in Loop: Header=BB4_102 Depth=1
	s_or_b64 exec, exec, s[2:3]
	v_add_u32_e32 v34, 0x100, v38
	v_cmp_lt_u32_e32 vcc, s4, v38
	v_add_u32_e32 v37, 0x400, v37
	s_or_b64 s[0:1], vcc, s[0:1]
	v_mov_b32_e32 v38, v34
	s_andn2_b64 exec, exec, s[0:1]
	s_cbranch_execz .LBB4_104
.LBB4_102:                              ; =>This Inner Loop Header: Depth=1
	v_add_u32_e32 v34, s25, v38
	v_cmp_gt_u32_e32 vcc, s24, v34
	s_and_saveexec_b64 s[2:3], vcc
	s_cbranch_execz .LBB4_101
; %bb.103:                              ;   in Loop: Header=BB4_102 Depth=1
	ds_read_b32 v39, v37
	s_waitcnt lgkmcnt(0)
	v_bfe_u32 v34, v39, s26, 8
	v_lshlrev_b32_e32 v34, 2, v34
	ds_read_b32 v34, v34 offset:20480
	s_waitcnt lgkmcnt(0)
	v_add_u32_e32 v34, v38, v34
	v_lshl_add_u64 v[40:41], v[34:35], 2, s[10:11]
	global_store_dword v[40:41], v39, off
	s_branch .LBB4_101
.LBB4_104:
	s_or_b64 exec, exec, s[0:1]
	s_mov_b64 s[0:1], 0
	v_mov_b32_e32 v35, 0
	s_movk_i32 s6, 0x1df
	s_mov_b64 s[2:3], 0
	s_barrier
	s_branch .LBB4_106
.LBB4_105:                              ;   in Loop: Header=BB4_106 Depth=1
	s_or_b64 exec, exec, s[4:5]
	s_add_u32 s2, s2, 1
	v_add_u32_e32 v34, 32, v44
	s_addc_u32 s3, s3, 0
	v_cmp_lt_u32_e32 vcc, s6, v44
	s_or_b64 s[0:1], vcc, s[0:1]
	v_mov_b32_e32 v44, v34
	s_andn2_b64 exec, exec, s[0:1]
	s_cbranch_execz .LBB4_108
.LBB4_106:                              ; =>This Inner Loop Header: Depth=1
	v_add_u32_e32 v34, v1, v44
	v_cmp_gt_u32_e32 vcc, s24, v34
	s_and_saveexec_b64 s[4:5], vcc
	s_cbranch_execz .LBB4_105
; %bb.107:                              ;   in Loop: Header=BB4_106 Depth=1
	s_set_gpr_idx_on s2, gpr_idx(SRC0)
	v_mov_b32_e32 v37, v18
	s_set_gpr_idx_off
	v_lshl_add_u64 v[38:39], v[34:35], 2, s[12:13]
	s_set_gpr_idx_on s2, gpr_idx(SRC0)
	v_mov_b32_e32 v40, v2
	s_set_gpr_idx_off
	global_load_dword v34, v[38:39], off
	v_lshlrev_b32_e32 v38, 2, v37
	v_lshrrev_b32_e32 v39, s26, v40
	s_waitcnt vmcnt(0)
	ds_write_b32 v38, v34
	ds_write_b8 v37, v39 offset:16384
	s_branch .LBB4_105
.LBB4_108:
	s_or_b64 exec, exec, s[0:1]
	s_mov_b64 s[0:1], 0
	v_mov_b32_e32 v3, 0
	s_movk_i32 s4, 0xeff
	s_waitcnt lgkmcnt(0)
	s_barrier
	s_branch .LBB4_110
.LBB4_109:                              ;   in Loop: Header=BB4_110 Depth=1
	s_or_b64 exec, exec, s[2:3]
	v_add_u32_e32 v1, 0x100, v0
	v_cmp_lt_u32_e32 vcc, s4, v0
	v_add_u32_e32 v36, 0x400, v36
	s_or_b64 s[0:1], vcc, s[0:1]
	v_mov_b32_e32 v0, v1
	s_andn2_b64 exec, exec, s[0:1]
	s_cbranch_execz .LBB4_112
.LBB4_110:                              ; =>This Inner Loop Header: Depth=1
	v_add_u32_e32 v1, s25, v0
	v_cmp_gt_u32_e32 vcc, s24, v1
	s_and_saveexec_b64 s[2:3], vcc
	s_cbranch_execz .LBB4_109
; %bb.111:                              ;   in Loop: Header=BB4_110 Depth=1
	ds_read_u8 v1, v0 offset:16384
	s_waitcnt lgkmcnt(0)
	v_lshlrev_b32_e32 v1, 2, v1
	ds_read_b32 v1, v1 offset:20480
	ds_read_b32 v6, v36
	s_waitcnt lgkmcnt(1)
	v_add_u32_e32 v2, v0, v1
	v_lshl_add_u64 v[4:5], v[2:3], 2, s[14:15]
	s_waitcnt lgkmcnt(0)
	global_store_dword v[4:5], v6, off
	s_branch .LBB4_109
.LBB4_112:
	s_endpgm
	.section	.rodata,"a",@progbits
	.p2align	6, 0x0
	.amdhsa_kernel OnesweepReorderKeyPair64
		.amdhsa_group_segment_fixed_size 21504
		.amdhsa_private_segment_fixed_size 0
		.amdhsa_kernarg_size 72
		.amdhsa_user_sgpr_count 2
		.amdhsa_user_sgpr_dispatch_ptr 0
		.amdhsa_user_sgpr_queue_ptr 0
		.amdhsa_user_sgpr_kernarg_segment_ptr 1
		.amdhsa_user_sgpr_dispatch_id 0
		.amdhsa_user_sgpr_kernarg_preload_length 0
		.amdhsa_user_sgpr_kernarg_preload_offset 0
		.amdhsa_user_sgpr_private_segment_size 0
		.amdhsa_uses_dynamic_stack 0
		.amdhsa_enable_private_segment 0
		.amdhsa_system_sgpr_workgroup_id_x 1
		.amdhsa_system_sgpr_workgroup_id_y 0
		.amdhsa_system_sgpr_workgroup_id_z 0
		.amdhsa_system_sgpr_workgroup_info 0
		.amdhsa_system_vgpr_workitem_id 0
		.amdhsa_next_free_vgpr 65
		.amdhsa_next_free_sgpr 75
		.amdhsa_accum_offset 64
		.amdhsa_reserve_vcc 1
		.amdhsa_float_round_mode_32 0
		.amdhsa_float_round_mode_16_64 0
		.amdhsa_float_denorm_mode_32 3
		.amdhsa_float_denorm_mode_16_64 3
		.amdhsa_dx10_clamp 1
		.amdhsa_ieee_mode 1
		.amdhsa_fp16_overflow 0
		.amdhsa_tg_split 0
		.amdhsa_exception_fp_ieee_invalid_op 0
		.amdhsa_exception_fp_denorm_src 0
		.amdhsa_exception_fp_ieee_div_zero 0
		.amdhsa_exception_fp_ieee_overflow 0
		.amdhsa_exception_fp_ieee_underflow 0
		.amdhsa_exception_fp_ieee_inexact 0
		.amdhsa_exception_int_div_zero 0
	.end_amdhsa_kernel
	.text
.Lfunc_end4:
	.size	OnesweepReorderKeyPair64, .Lfunc_end4-OnesweepReorderKeyPair64
                                        ; -- End function
	.set OnesweepReorderKeyPair64.num_vgpr, 62
	.set OnesweepReorderKeyPair64.num_agpr, 0
	.set OnesweepReorderKeyPair64.numbered_sgpr, 29
	.set OnesweepReorderKeyPair64.num_named_barrier, 0
	.set OnesweepReorderKeyPair64.private_seg_size, 0
	.set OnesweepReorderKeyPair64.uses_vcc, 1
	.set OnesweepReorderKeyPair64.uses_flat_scratch, 0
	.set OnesweepReorderKeyPair64.has_dyn_sized_stack, 0
	.set OnesweepReorderKeyPair64.has_recursion, 0
	.set OnesweepReorderKeyPair64.has_indirect_call, 0
	.section	.AMDGPU.csdata,"",@progbits
; Kernel info:
; codeLenInByte = 4344
; TotalNumSgprs: 35
; NumVgprs: 62
; NumAgprs: 0
; TotalNumVgprs: 62
; ScratchSize: 0
; MemoryBound: 0
; FloatMode: 240
; IeeeMode: 1
; LDSByteSize: 21504 bytes/workgroup (compile time only)
; SGPRBlocks: 10
; VGPRBlocks: 8
; NumSGPRsForWavesPerEU: 81
; NumVGPRsForWavesPerEU: 65
; AccumOffset: 64
; Occupancy: 7
; WaveLimiterHint : 0
; COMPUTE_PGM_RSRC2:SCRATCH_EN: 0
; COMPUTE_PGM_RSRC2:USER_SGPR: 2
; COMPUTE_PGM_RSRC2:TRAP_HANDLER: 0
; COMPUTE_PGM_RSRC2:TGID_X_EN: 1
; COMPUTE_PGM_RSRC2:TGID_Y_EN: 0
; COMPUTE_PGM_RSRC2:TGID_Z_EN: 0
; COMPUTE_PGM_RSRC2:TIDIG_COMP_CNT: 0
; COMPUTE_PGM_RSRC3_GFX90A:ACCUM_OFFSET: 15
; COMPUTE_PGM_RSRC3_GFX90A:TG_SPLIT: 0
	.text
	.p2alignl 6, 3212836864
	.fill 256, 4, 3212836864
	.section	.AMDGPU.gpr_maximums,"",@progbits
	.set amdgpu.max_num_vgpr, 0
	.set amdgpu.max_num_agpr, 0
	.set amdgpu.max_num_sgpr, 0
	.text
	.type	__hip_cuid_8ef1d0b6338bda0a,@object ; @__hip_cuid_8ef1d0b6338bda0a
	.section	.bss,"aw",@nobits
	.globl	__hip_cuid_8ef1d0b6338bda0a
__hip_cuid_8ef1d0b6338bda0a:
	.byte	0                               ; 0x0
	.size	__hip_cuid_8ef1d0b6338bda0a, 1

	.ident	"AMD clang version 22.0.0git (https://github.com/RadeonOpenCompute/llvm-project roc-7.2.4 26084 f58b06dce1f9c15707c5f808fd002e18c2accf7e)"
	.section	".note.GNU-stack","",@progbits
	.addrsig
	.addrsig_sym __hip_cuid_8ef1d0b6338bda0a
	.amdgpu_metadata
---
amdhsa.kernels:
  - .agpr_count:     0
    .args:
      - .address_space:  global
        .offset:         0
        .size:           8
        .value_kind:     global_buffer
      - .address_space:  global
        .offset:         8
        .size:           8
        .value_kind:     global_buffer
      - .offset:         16
        .size:           4
        .value_kind:     by_value
      - .offset:         20
        .size:           4
        .value_kind:     by_value
      - .offset:         24
        .size:           4
        .value_kind:     by_value
    .group_segment_fixed_size: 17456
    .kernarg_segment_align: 8
    .kernarg_segment_size: 28
    .language:       OpenCL C
    .language_version:
      - 2
      - 0
    .max_flat_workgroup_size: 1024
    .name:           SortSinglePassKernel
    .private_segment_fixed_size: 28
    .sgpr_count:     78
    .sgpr_spill_count: 0
    .symbol:         SortSinglePassKernel.kd
    .uniform_work_group_size: 1
    .uses_dynamic_stack: false
    .vgpr_count:     128
    .vgpr_spill_count: 6
    .wavefront_size: 64
  - .agpr_count:     0
    .args:
      - .address_space:  global
        .offset:         0
        .size:           8
        .value_kind:     global_buffer
      - .address_space:  global
        .offset:         8
        .size:           8
        .value_kind:     global_buffer
      - .address_space:  global
        .offset:         16
        .size:           8
        .value_kind:     global_buffer
      - .address_space:  global
        .offset:         24
        .size:           8
        .value_kind:     global_buffer
      - .offset:         32
        .size:           4
        .value_kind:     by_value
      - .offset:         36
        .size:           4
        .value_kind:     by_value
      - .offset:         40
        .size:           4
        .value_kind:     by_value
    .group_segment_fixed_size: 29744
    .kernarg_segment_align: 8
    .kernarg_segment_size: 44
    .language:       OpenCL C
    .language_version:
      - 2
      - 0
    .max_flat_workgroup_size: 1024
    .name:           SortSinglePassKVKernel
    .private_segment_fixed_size: 116
    .sgpr_count:     80
    .sgpr_spill_count: 0
    .symbol:         SortSinglePassKVKernel.kd
    .uniform_work_group_size: 1
    .uses_dynamic_stack: false
    .vgpr_count:     128
    .vgpr_spill_count: 47
    .wavefront_size: 64
  - .agpr_count:     0
    .args:
      - .address_space:  global
        .offset:         0
        .size:           8
        .value_kind:     global_buffer
      - .offset:         8
        .size:           4
        .value_kind:     by_value
      - .address_space:  global
        .offset:         16
        .size:           8
        .value_kind:     global_buffer
      - .offset:         24
        .size:           4
        .value_kind:     by_value
      - .address_space:  global
        .offset:         32
        .size:           8
        .value_kind:     global_buffer
    .group_segment_fixed_size: 4100
    .kernarg_segment_align: 8
    .kernarg_segment_size: 40
    .language:       OpenCL C
    .language_version:
      - 2
      - 0
    .max_flat_workgroup_size: 1024
    .name:           GHistogram
    .private_segment_fixed_size: 0
    .sgpr_count:     28
    .sgpr_spill_count: 0
    .symbol:         GHistogram.kd
    .uniform_work_group_size: 1
    .uses_dynamic_stack: false
    .vgpr_count:     10
    .vgpr_spill_count: 0
    .wavefront_size: 64
  - .agpr_count:     0
    .args:
      - .address_space:  global
        .offset:         0
        .size:           8
        .value_kind:     global_buffer
      - .address_space:  global
        .offset:         8
        .size:           8
        .value_kind:     global_buffer
      - .offset:         16
        .size:           4
        .value_kind:     by_value
      - .address_space:  global
        .offset:         24
        .size:           8
        .value_kind:     global_buffer
      - .address_space:  global
        .offset:         32
        .size:           8
        .value_kind:     global_buffer
      - .address_space:  global
        .offset:         40
        .size:           8
        .value_kind:     global_buffer
      - .offset:         48
        .size:           4
        .value_kind:     by_value
      - .offset:         52
        .size:           4
        .value_kind:     by_value
    .group_segment_fixed_size: 21504
    .kernarg_segment_align: 8
    .kernarg_segment_size: 56
    .language:       OpenCL C
    .language_version:
      - 2
      - 0
    .max_flat_workgroup_size: 256
    .name:           OnesweepReorderKey64
    .private_segment_fixed_size: 0
    .sgpr_count:     31
    .sgpr_spill_count: 0
    .symbol:         OnesweepReorderKey64.kd
    .uniform_work_group_size: 1
    .uses_dynamic_stack: false
    .vgpr_count:     62
    .vgpr_spill_count: 0
    .wavefront_size: 64
  - .agpr_count:     0
    .args:
      - .address_space:  global
        .offset:         0
        .size:           8
        .value_kind:     global_buffer
      - .address_space:  global
        .offset:         8
        .size:           8
        .value_kind:     global_buffer
      - .address_space:  global
        .offset:         16
        .size:           8
        .value_kind:     global_buffer
      - .address_space:  global
        .offset:         24
        .size:           8
        .value_kind:     global_buffer
      - .offset:         32
        .size:           4
        .value_kind:     by_value
      - .address_space:  global
        .offset:         40
        .size:           8
        .value_kind:     global_buffer
      - .address_space:  global
        .offset:         48
        .size:           8
        .value_kind:     global_buffer
      - .address_space:  global
        .offset:         56
        .size:           8
        .value_kind:     global_buffer
      - .offset:         64
        .size:           4
        .value_kind:     by_value
      - .offset:         68
        .size:           4
        .value_kind:     by_value
    .group_segment_fixed_size: 21504
    .kernarg_segment_align: 8
    .kernarg_segment_size: 72
    .language:       OpenCL C
    .language_version:
      - 2
      - 0
    .max_flat_workgroup_size: 256
    .name:           OnesweepReorderKeyPair64
    .private_segment_fixed_size: 0
    .sgpr_count:     35
    .sgpr_spill_count: 0
    .symbol:         OnesweepReorderKeyPair64.kd
    .uniform_work_group_size: 1
    .uses_dynamic_stack: false
    .vgpr_count:     62
    .vgpr_spill_count: 0
    .wavefront_size: 64
amdhsa.target:   amdgcn-amd-amdhsa--gfx950
amdhsa.version:
  - 1
  - 2
...

	.end_amdgpu_metadata
